;; amdgpu-corpus repo=ROCm/rocFFT kind=compiled arch=gfx1201 opt=O3
	.text
	.amdgcn_target "amdgcn-amd-amdhsa--gfx1201"
	.amdhsa_code_object_version 6
	.protected	fft_rtc_back_len1188_factors_6_11_2_3_3_wgs_198_tpt_66_halfLds_half_op_CI_CI_unitstride_sbrr_dirReg ; -- Begin function fft_rtc_back_len1188_factors_6_11_2_3_3_wgs_198_tpt_66_halfLds_half_op_CI_CI_unitstride_sbrr_dirReg
	.globl	fft_rtc_back_len1188_factors_6_11_2_3_3_wgs_198_tpt_66_halfLds_half_op_CI_CI_unitstride_sbrr_dirReg
	.p2align	8
	.type	fft_rtc_back_len1188_factors_6_11_2_3_3_wgs_198_tpt_66_halfLds_half_op_CI_CI_unitstride_sbrr_dirReg,@function
fft_rtc_back_len1188_factors_6_11_2_3_3_wgs_198_tpt_66_halfLds_half_op_CI_CI_unitstride_sbrr_dirReg: ; @fft_rtc_back_len1188_factors_6_11_2_3_3_wgs_198_tpt_66_halfLds_half_op_CI_CI_unitstride_sbrr_dirReg
; %bb.0:
	s_load_b128 s[8:11], s[0:1], 0x0
	v_mul_u32_u24_e32 v1, 0x3e1, v0
	s_clause 0x1
	s_load_b128 s[4:7], s[0:1], 0x58
	s_load_b128 s[12:15], s[0:1], 0x18
	v_mov_b32_e32 v5, 0
	v_mov_b32_e32 v3, 0
	;; [unrolled: 1-line block ×3, first 2 shown]
	v_lshrrev_b32_e32 v1, 16, v1
	s_delay_alu instid0(VALU_DEP_2) | instskip(NEXT) | instid1(VALU_DEP_2)
	v_dual_mov_b32 v17, v4 :: v_dual_mov_b32 v16, v3
	v_mad_co_u64_u32 v[1:2], null, ttmp9, 3, v[1:2]
	v_mov_b32_e32 v2, v5
	s_delay_alu instid0(VALU_DEP_1) | instskip(SKIP_2) | instid1(VALU_DEP_1)
	v_dual_mov_b32 v21, v2 :: v_dual_mov_b32 v20, v1
	s_wait_kmcnt 0x0
	v_cmp_lt_u64_e64 s2, s[10:11], 2
	s_and_b32 vcc_lo, exec_lo, s2
	s_cbranch_vccnz .LBB0_8
; %bb.1:
	s_load_b64 s[2:3], s[0:1], 0x10
	v_dual_mov_b32 v3, 0 :: v_dual_mov_b32 v8, v2
	v_dual_mov_b32 v4, 0 :: v_dual_mov_b32 v7, v1
	s_add_nc_u64 s[16:17], s[14:15], 8
	s_add_nc_u64 s[18:19], s[12:13], 8
	s_mov_b64 s[20:21], 1
	s_delay_alu instid0(VALU_DEP_1)
	v_dual_mov_b32 v17, v4 :: v_dual_mov_b32 v16, v3
	s_wait_kmcnt 0x0
	s_add_nc_u64 s[22:23], s[2:3], 8
	s_mov_b32 s3, 0
.LBB0_2:                                ; =>This Inner Loop Header: Depth=1
	s_load_b64 s[24:25], s[22:23], 0x0
                                        ; implicit-def: $vgpr20_vgpr21
	s_mov_b32 s2, exec_lo
	s_wait_kmcnt 0x0
	v_or_b32_e32 v6, s25, v8
	s_delay_alu instid0(VALU_DEP_1)
	v_cmpx_ne_u64_e32 0, v[5:6]
	s_wait_alu 0xfffe
	s_xor_b32 s26, exec_lo, s2
	s_cbranch_execz .LBB0_4
; %bb.3:                                ;   in Loop: Header=BB0_2 Depth=1
	s_cvt_f32_u32 s2, s24
	s_cvt_f32_u32 s27, s25
	s_sub_nc_u64 s[30:31], 0, s[24:25]
	s_wait_alu 0xfffe
	s_delay_alu instid0(SALU_CYCLE_1) | instskip(SKIP_1) | instid1(SALU_CYCLE_2)
	s_fmamk_f32 s2, s27, 0x4f800000, s2
	s_wait_alu 0xfffe
	v_s_rcp_f32 s2, s2
	s_delay_alu instid0(TRANS32_DEP_1) | instskip(SKIP_1) | instid1(SALU_CYCLE_2)
	s_mul_f32 s2, s2, 0x5f7ffffc
	s_wait_alu 0xfffe
	s_mul_f32 s27, s2, 0x2f800000
	s_wait_alu 0xfffe
	s_delay_alu instid0(SALU_CYCLE_2) | instskip(SKIP_1) | instid1(SALU_CYCLE_2)
	s_trunc_f32 s27, s27
	s_wait_alu 0xfffe
	s_fmamk_f32 s2, s27, 0xcf800000, s2
	s_cvt_u32_f32 s29, s27
	s_wait_alu 0xfffe
	s_delay_alu instid0(SALU_CYCLE_1) | instskip(SKIP_1) | instid1(SALU_CYCLE_2)
	s_cvt_u32_f32 s28, s2
	s_wait_alu 0xfffe
	s_mul_u64 s[34:35], s[30:31], s[28:29]
	s_wait_alu 0xfffe
	s_mul_hi_u32 s37, s28, s35
	s_mul_i32 s36, s28, s35
	s_mul_hi_u32 s2, s28, s34
	s_mul_i32 s33, s29, s34
	s_wait_alu 0xfffe
	s_add_nc_u64 s[36:37], s[2:3], s[36:37]
	s_mul_hi_u32 s27, s29, s34
	s_mul_hi_u32 s38, s29, s35
	s_add_co_u32 s2, s36, s33
	s_wait_alu 0xfffe
	s_add_co_ci_u32 s2, s37, s27
	s_mul_i32 s34, s29, s35
	s_add_co_ci_u32 s35, s38, 0
	s_wait_alu 0xfffe
	s_add_nc_u64 s[34:35], s[2:3], s[34:35]
	s_wait_alu 0xfffe
	v_add_co_u32 v2, s2, s28, s34
	s_delay_alu instid0(VALU_DEP_1) | instskip(SKIP_1) | instid1(VALU_DEP_1)
	s_cmp_lg_u32 s2, 0
	s_add_co_ci_u32 s29, s29, s35
	v_readfirstlane_b32 s28, v2
	s_wait_alu 0xfffe
	s_delay_alu instid0(VALU_DEP_1)
	s_mul_u64 s[30:31], s[30:31], s[28:29]
	s_wait_alu 0xfffe
	s_mul_hi_u32 s35, s28, s31
	s_mul_i32 s34, s28, s31
	s_mul_hi_u32 s2, s28, s30
	s_mul_i32 s33, s29, s30
	s_wait_alu 0xfffe
	s_add_nc_u64 s[34:35], s[2:3], s[34:35]
	s_mul_hi_u32 s27, s29, s30
	s_mul_hi_u32 s28, s29, s31
	s_wait_alu 0xfffe
	s_add_co_u32 s2, s34, s33
	s_add_co_ci_u32 s2, s35, s27
	s_mul_i32 s30, s29, s31
	s_add_co_ci_u32 s31, s28, 0
	s_wait_alu 0xfffe
	s_add_nc_u64 s[30:31], s[2:3], s[30:31]
	s_wait_alu 0xfffe
	v_add_co_u32 v2, s2, v2, s30
	s_delay_alu instid0(VALU_DEP_1) | instskip(SKIP_1) | instid1(VALU_DEP_1)
	s_cmp_lg_u32 s2, 0
	s_add_co_ci_u32 s2, s29, s31
	v_mul_hi_u32 v6, v7, v2
	s_wait_alu 0xfffe
	v_mad_co_u64_u32 v[9:10], null, v7, s2, 0
	v_mad_co_u64_u32 v[11:12], null, v8, v2, 0
	;; [unrolled: 1-line block ×3, first 2 shown]
	s_delay_alu instid0(VALU_DEP_3) | instskip(SKIP_1) | instid1(VALU_DEP_4)
	v_add_co_u32 v2, vcc_lo, v6, v9
	s_wait_alu 0xfffd
	v_add_co_ci_u32_e32 v6, vcc_lo, 0, v10, vcc_lo
	s_delay_alu instid0(VALU_DEP_2) | instskip(SKIP_1) | instid1(VALU_DEP_2)
	v_add_co_u32 v2, vcc_lo, v2, v11
	s_wait_alu 0xfffd
	v_add_co_ci_u32_e32 v2, vcc_lo, v6, v12, vcc_lo
	s_wait_alu 0xfffd
	v_add_co_ci_u32_e32 v6, vcc_lo, 0, v14, vcc_lo
	s_delay_alu instid0(VALU_DEP_2) | instskip(SKIP_1) | instid1(VALU_DEP_2)
	v_add_co_u32 v2, vcc_lo, v2, v13
	s_wait_alu 0xfffd
	v_add_co_ci_u32_e32 v6, vcc_lo, 0, v6, vcc_lo
	s_delay_alu instid0(VALU_DEP_2) | instskip(SKIP_1) | instid1(VALU_DEP_3)
	v_mul_lo_u32 v11, s25, v2
	v_mad_co_u64_u32 v[9:10], null, s24, v2, 0
	v_mul_lo_u32 v12, s24, v6
	s_delay_alu instid0(VALU_DEP_2) | instskip(NEXT) | instid1(VALU_DEP_2)
	v_sub_co_u32 v9, vcc_lo, v7, v9
	v_add3_u32 v10, v10, v12, v11
	s_delay_alu instid0(VALU_DEP_1) | instskip(SKIP_1) | instid1(VALU_DEP_1)
	v_sub_nc_u32_e32 v11, v8, v10
	s_wait_alu 0xfffd
	v_subrev_co_ci_u32_e64 v11, s2, s25, v11, vcc_lo
	v_add_co_u32 v12, s2, v2, 2
	s_wait_alu 0xf1ff
	v_add_co_ci_u32_e64 v13, s2, 0, v6, s2
	v_sub_co_u32 v14, s2, v9, s24
	v_sub_co_ci_u32_e32 v10, vcc_lo, v8, v10, vcc_lo
	s_wait_alu 0xf1ff
	v_subrev_co_ci_u32_e64 v11, s2, 0, v11, s2
	s_delay_alu instid0(VALU_DEP_3) | instskip(NEXT) | instid1(VALU_DEP_3)
	v_cmp_le_u32_e32 vcc_lo, s24, v14
	v_cmp_eq_u32_e64 s2, s25, v10
	s_wait_alu 0xfffd
	v_cndmask_b32_e64 v14, 0, -1, vcc_lo
	v_cmp_le_u32_e32 vcc_lo, s25, v11
	s_wait_alu 0xfffd
	v_cndmask_b32_e64 v15, 0, -1, vcc_lo
	v_cmp_le_u32_e32 vcc_lo, s24, v9
	;; [unrolled: 3-line block ×3, first 2 shown]
	s_wait_alu 0xfffd
	v_cndmask_b32_e64 v18, 0, -1, vcc_lo
	v_cmp_eq_u32_e32 vcc_lo, s25, v11
	s_wait_alu 0xf1ff
	s_delay_alu instid0(VALU_DEP_2)
	v_cndmask_b32_e64 v9, v18, v9, s2
	s_wait_alu 0xfffd
	v_cndmask_b32_e32 v11, v15, v14, vcc_lo
	v_add_co_u32 v14, vcc_lo, v2, 1
	s_wait_alu 0xfffd
	v_add_co_ci_u32_e32 v15, vcc_lo, 0, v6, vcc_lo
	s_delay_alu instid0(VALU_DEP_3) | instskip(SKIP_1) | instid1(VALU_DEP_2)
	v_cmp_ne_u32_e32 vcc_lo, 0, v11
	s_wait_alu 0xfffd
	v_dual_cndmask_b32 v10, v15, v13 :: v_dual_cndmask_b32 v11, v14, v12
	v_cmp_ne_u32_e32 vcc_lo, 0, v9
	s_wait_alu 0xfffd
	s_delay_alu instid0(VALU_DEP_2) | instskip(NEXT) | instid1(VALU_DEP_3)
	v_cndmask_b32_e32 v21, v6, v10, vcc_lo
	v_cndmask_b32_e32 v20, v2, v11, vcc_lo
.LBB0_4:                                ;   in Loop: Header=BB0_2 Depth=1
	s_wait_alu 0xfffe
	s_and_not1_saveexec_b32 s2, s26
	s_cbranch_execz .LBB0_6
; %bb.5:                                ;   in Loop: Header=BB0_2 Depth=1
	v_cvt_f32_u32_e32 v2, s24
	s_sub_co_i32 s26, 0, s24
	v_mov_b32_e32 v21, v5
	s_delay_alu instid0(VALU_DEP_2) | instskip(NEXT) | instid1(TRANS32_DEP_1)
	v_rcp_iflag_f32_e32 v2, v2
	v_mul_f32_e32 v2, 0x4f7ffffe, v2
	s_delay_alu instid0(VALU_DEP_1) | instskip(SKIP_1) | instid1(VALU_DEP_1)
	v_cvt_u32_f32_e32 v2, v2
	s_wait_alu 0xfffe
	v_mul_lo_u32 v6, s26, v2
	s_delay_alu instid0(VALU_DEP_1) | instskip(NEXT) | instid1(VALU_DEP_1)
	v_mul_hi_u32 v6, v2, v6
	v_add_nc_u32_e32 v2, v2, v6
	s_delay_alu instid0(VALU_DEP_1) | instskip(NEXT) | instid1(VALU_DEP_1)
	v_mul_hi_u32 v2, v7, v2
	v_mul_lo_u32 v6, v2, s24
	v_add_nc_u32_e32 v9, 1, v2
	s_delay_alu instid0(VALU_DEP_2) | instskip(NEXT) | instid1(VALU_DEP_1)
	v_sub_nc_u32_e32 v6, v7, v6
	v_subrev_nc_u32_e32 v10, s24, v6
	v_cmp_le_u32_e32 vcc_lo, s24, v6
	s_wait_alu 0xfffd
	s_delay_alu instid0(VALU_DEP_2) | instskip(SKIP_1) | instid1(VALU_DEP_2)
	v_cndmask_b32_e32 v6, v6, v10, vcc_lo
	v_cndmask_b32_e32 v2, v2, v9, vcc_lo
	v_cmp_le_u32_e32 vcc_lo, s24, v6
	s_delay_alu instid0(VALU_DEP_2) | instskip(SKIP_1) | instid1(VALU_DEP_1)
	v_add_nc_u32_e32 v9, 1, v2
	s_wait_alu 0xfffd
	v_cndmask_b32_e32 v20, v2, v9, vcc_lo
.LBB0_6:                                ;   in Loop: Header=BB0_2 Depth=1
	s_wait_alu 0xfffe
	s_or_b32 exec_lo, exec_lo, s2
	v_mul_lo_u32 v2, v21, s24
	s_delay_alu instid0(VALU_DEP_2)
	v_mul_lo_u32 v6, v20, s25
	s_load_b64 s[26:27], s[18:19], 0x0
	v_mad_co_u64_u32 v[9:10], null, v20, s24, 0
	s_load_b64 s[24:25], s[16:17], 0x0
	s_add_nc_u64 s[20:21], s[20:21], 1
	s_add_nc_u64 s[16:17], s[16:17], 8
	s_wait_alu 0xfffe
	v_cmp_ge_u64_e64 s2, s[20:21], s[10:11]
	s_add_nc_u64 s[18:19], s[18:19], 8
	s_add_nc_u64 s[22:23], s[22:23], 8
	v_add3_u32 v2, v10, v6, v2
	v_sub_co_u32 v6, vcc_lo, v7, v9
	s_wait_alu 0xfffd
	s_delay_alu instid0(VALU_DEP_2) | instskip(SKIP_2) | instid1(VALU_DEP_1)
	v_sub_co_ci_u32_e32 v2, vcc_lo, v8, v2, vcc_lo
	s_and_b32 vcc_lo, exec_lo, s2
	s_wait_kmcnt 0x0
	v_mul_lo_u32 v7, s26, v2
	v_mul_lo_u32 v8, s27, v6
	v_mad_co_u64_u32 v[3:4], null, s26, v6, v[3:4]
	v_mul_lo_u32 v2, s24, v2
	v_mul_lo_u32 v9, s25, v6
	v_mad_co_u64_u32 v[16:17], null, s24, v6, v[16:17]
	s_delay_alu instid0(VALU_DEP_4) | instskip(NEXT) | instid1(VALU_DEP_2)
	v_add3_u32 v4, v8, v4, v7
	v_add3_u32 v17, v9, v17, v2
	s_wait_alu 0xfffe
	s_cbranch_vccnz .LBB0_8
; %bb.7:                                ;   in Loop: Header=BB0_2 Depth=1
	v_dual_mov_b32 v7, v20 :: v_dual_mov_b32 v8, v21
	s_branch .LBB0_2
.LBB0_8:
	s_load_b64 s[0:1], s[0:1], 0x28
	v_mul_hi_u32 v40, 0x3e0f83f, v0
	s_lshl_b64 s[10:11], s[10:11], 3
                                        ; implicit-def: $vgpr18
	s_wait_kmcnt 0x0
	v_cmp_gt_u64_e32 vcc_lo, s[0:1], v[20:21]
	v_cmp_le_u64_e64 s0, s[0:1], v[20:21]
	s_delay_alu instid0(VALU_DEP_1)
	s_and_saveexec_b32 s1, s0
	s_wait_alu 0xfffe
	s_xor_b32 s0, exec_lo, s1
; %bb.9:
	v_mul_u32_u24_e32 v2, 0x42, v40
                                        ; implicit-def: $vgpr40
                                        ; implicit-def: $vgpr3_vgpr4
	s_delay_alu instid0(VALU_DEP_1)
	v_sub_nc_u32_e32 v18, v0, v2
                                        ; implicit-def: $vgpr0
; %bb.10:
	s_wait_alu 0xfffe
	s_or_saveexec_b32 s1, s0
	s_add_nc_u64 s[2:3], s[14:15], s[10:11]
                                        ; implicit-def: $vgpr23
                                        ; implicit-def: $vgpr22
                                        ; implicit-def: $vgpr58
                                        ; implicit-def: $vgpr2
                                        ; implicit-def: $vgpr62
                                        ; implicit-def: $vgpr9
                                        ; implicit-def: $vgpr61
                                        ; implicit-def: $vgpr39
                                        ; implicit-def: $vgpr59
                                        ; implicit-def: $vgpr12
                                        ; implicit-def: $vgpr60
                                        ; implicit-def: $vgpr38
                                        ; implicit-def: $vgpr7
                                        ; implicit-def: $vgpr29
                                        ; implicit-def: $vgpr31
                                        ; implicit-def: $vgpr5
                                        ; implicit-def: $vgpr47
                                        ; implicit-def: $vgpr8
                                        ; implicit-def: $vgpr35
                                        ; implicit-def: $vgpr37
                                        ; implicit-def: $vgpr34
                                        ; implicit-def: $vgpr11
                                        ; implicit-def: $vgpr33
                                        ; implicit-def: $vgpr32
                                        ; implicit-def: $vgpr10
                                        ; implicit-def: $vgpr28
                                        ; implicit-def: $vgpr15
                                        ; implicit-def: $vgpr6
                                        ; implicit-def: $vgpr25
                                        ; implicit-def: $vgpr13
                                        ; implicit-def: $vgpr24
                                        ; implicit-def: $vgpr36
                                        ; implicit-def: $vgpr26
                                        ; implicit-def: $vgpr14
                                        ; implicit-def: $vgpr19
                                        ; implicit-def: $vgpr30
                                        ; implicit-def: $vgpr27
	s_wait_alu 0xfffe
	s_xor_b32 exec_lo, exec_lo, s1
	s_cbranch_execz .LBB0_12
; %bb.11:
	s_add_nc_u64 s[10:11], s[12:13], s[10:11]
	s_load_b64 s[10:11], s[10:11], 0x0
	s_wait_kmcnt 0x0
	v_mul_lo_u32 v2, s11, v20
	v_mul_lo_u32 v7, s10, v21
	v_mad_co_u64_u32 v[5:6], null, s10, v20, 0
	s_delay_alu instid0(VALU_DEP_1) | instskip(SKIP_2) | instid1(VALU_DEP_3)
	v_add3_u32 v6, v6, v7, v2
	v_mul_u32_u24_e32 v7, 0x42, v40
	v_lshlrev_b64_e32 v[2:3], 2, v[3:4]
	v_lshlrev_b64_e32 v[5:6], 2, v[5:6]
	s_delay_alu instid0(VALU_DEP_3) | instskip(NEXT) | instid1(VALU_DEP_1)
	v_sub_nc_u32_e32 v18, v0, v7
	v_mov_b32_e32 v27, v18
	s_delay_alu instid0(VALU_DEP_3) | instskip(SKIP_1) | instid1(VALU_DEP_4)
	v_add_co_u32 v0, s0, s4, v5
	s_wait_alu 0xf1ff
	v_add_co_ci_u32_e64 v4, s0, s5, v6, s0
	v_lshlrev_b32_e32 v5, 2, v18
	s_delay_alu instid0(VALU_DEP_3) | instskip(SKIP_1) | instid1(VALU_DEP_3)
	v_add_co_u32 v0, s0, v0, v2
	s_wait_alu 0xf1ff
	v_add_co_ci_u32_e64 v2, s0, v4, v3, s0
	s_delay_alu instid0(VALU_DEP_2) | instskip(SKIP_1) | instid1(VALU_DEP_2)
	v_add_co_u32 v3, s0, v0, v5
	s_wait_alu 0xf1ff
	v_add_co_ci_u32_e64 v4, s0, 0, v2, s0
	s_clause 0x11
	global_load_b32 v2, v[3:4], off offset:792
	global_load_b32 v9, v[3:4], off offset:1584
	global_load_b32 v22, v[3:4], off
	global_load_b32 v39, v[3:4], off offset:2376
	global_load_b32 v12, v[3:4], off offset:3168
	;; [unrolled: 1-line block ×15, first 2 shown]
	s_wait_loadcnt 0x11
	v_lshrrev_b32_e32 v58, 16, v2
	s_wait_loadcnt 0x10
	v_lshrrev_b32_e32 v62, 16, v9
	;; [unrolled: 2-line block ×18, first 2 shown]
.LBB0_12:
	s_or_b32 exec_lo, exec_lo, s1
	v_mul_hi_u32 v0, 0xaaaaaaab, v1
	v_add_f16_e32 v4, v9, v12
	v_add_f16_e32 v3, v22, v9
	v_sub_f16_e32 v40, v62, v59
	v_add_f16_e32 v41, v2, v39
	v_add_f16_e32 v42, v61, v60
	;; [unrolled: 1-line block ×3, first 2 shown]
	v_fmac_f16_e32 v22, -0.5, v4
	v_lshrrev_b32_e32 v44, 1, v0
	v_sub_f16_e32 v45, v61, v60
	v_sub_f16_e32 v39, v39, v38
	v_fma_f16 v0, -0.5, v42, v58
	v_add_f16_e32 v42, v3, v12
	v_lshl_add_u32 v44, v44, 1, v44
	v_fmac_f16_e32 v2, -0.5, v43
	v_add_f16_e32 v38, v41, v38
	v_add_f16_e32 v41, v35, v33
	v_fmamk_f16 v3, v39, 0x3aee, v0
	v_sub_nc_u32_e32 v4, v1, v44
	v_fmamk_f16 v44, v40, 0xbaee, v22
	v_fmac_f16_e32 v22, 0x3aee, v40
	v_fmamk_f16 v1, v45, 0xbaee, v2
	v_fmac_f16_e32 v2, 0x3aee, v45
	v_mul_u32_u24_e32 v40, 0x4a4, v4
	v_add_f16_e32 v4, v29, v8
	v_add_f16_e32 v45, v42, v38
	v_sub_f16_e32 v49, v42, v38
	v_add_f16_e32 v42, v37, v32
	v_fmac_f16_e32 v0, 0xbaee, v39
	v_add_f16_e32 v38, v4, v11
	v_fma_f16 v4, -0.5, v41, v31
	v_sub_f16_e32 v41, v37, v32
	v_add_f16_e32 v50, v8, v11
	v_add_f16_e32 v37, v5, v37
	v_fmac_f16_e32 v5, -0.5, v42
	v_sub_f16_e32 v42, v35, v33
	v_fmamk_f16 v63, v41, 0x3aee, v4
	v_fmac_f16_e32 v4, 0xbaee, v41
	v_mul_f16_e32 v39, 0xbaee, v3
	v_mul_f16_e32 v43, 0xbaee, v0
	v_fmac_f16_e32 v29, -0.5, v50
	v_sub_f16_e32 v41, v47, v34
	v_fmamk_f16 v64, v42, 0xbaee, v5
	v_fmac_f16_e32 v5, 0x3aee, v42
	v_mul_f16_e32 v50, 0xbaee, v4
	v_fmac_f16_e32 v39, 0.5, v1
	v_fmac_f16_e32 v43, -0.5, v2
	v_fmamk_f16 v51, v41, 0xbaee, v29
	v_fmac_f16_e32 v29, 0x3aee, v41
	v_add_f16_e32 v32, v37, v32
	v_fmac_f16_e32 v50, -0.5, v5
	v_add_f16_e32 v37, v24, v19
	v_add_f16_e32 v46, v44, v39
	v_add_f16_e32 v48, v22, v43
	v_mul_f16_e32 v42, 0xbaee, v63
	v_sub_f16_e32 v44, v44, v39
	v_sub_f16_e32 v22, v22, v43
	v_add_f16_e32 v43, v38, v32
	v_add_f16_e32 v53, v29, v50
	v_sub_f16_e32 v54, v38, v32
	v_sub_f16_e32 v32, v29, v50
	v_add_f16_e32 v29, v13, v14
	v_add_f16_e32 v39, v36, v30
	v_fma_f16 v65, -0.5, v37, v15
	v_sub_f16_e32 v37, v36, v30
	v_fmac_f16_e32 v42, 0.5, v64
	v_add_f16_e32 v38, v28, v13
	v_fmac_f16_e32 v28, -0.5, v29
	v_add_f16_e32 v29, v6, v36
	v_fmac_f16_e32 v6, -0.5, v39
	v_sub_f16_e32 v36, v24, v19
	v_fmamk_f16 v66, v37, 0x3aee, v65
	v_fmac_f16_e32 v65, 0xbaee, v37
	v_add_f16_e32 v52, v51, v42
	v_sub_f16_e32 v51, v51, v42
	v_sub_f16_e32 v39, v25, v26
	v_fmamk_f16 v69, v36, 0xbaee, v6
	v_mul_f16_e32 v42, 0xbaee, v66
	v_fmac_f16_e32 v6, 0x3aee, v36
	v_mul_f16_e32 v36, 0xbaee, v65
	v_add_f16_e32 v29, v29, v30
	v_lshlrev_b32_e32 v30, 1, v40
	v_add_f16_e32 v41, v38, v14
	v_fmamk_f16 v50, v39, 0xbaee, v28
	v_fmac_f16_e32 v42, 0.5, v69
	v_fmac_f16_e32 v28, 0x3aee, v39
	v_fmac_f16_e32 v36, -0.5, v6
	v_mul_u32_u24_e32 v55, 6, v18
	v_add_nc_u32_e32 v56, 0, v30
	v_add_f16_e32 v37, v41, v29
	v_add_f16_e32 v38, v50, v42
	v_add_f16_e32 v39, v28, v36
	v_sub_f16_e32 v40, v41, v29
	v_sub_f16_e32 v41, v50, v42
	;; [unrolled: 1-line block ×3, first 2 shown]
	v_lshl_add_u32 v67, v55, 1, v56
	v_pack_b32_f16 v28, v48, v49
	v_pack_b32_f16 v29, v45, v46
	v_pack_b32_f16 v36, v44, v22
	v_lshlrev_b32_e32 v22, 1, v18
	v_pack_b32_f16 v44, v53, v54
	v_pack_b32_f16 v43, v43, v52
	;; [unrolled: 1-line block ×3, first 2 shown]
	s_load_b64 s[2:3], s[2:3], 0x0
	ds_store_2addr_b32 v67, v29, v28 offset1:1
	ds_store_2addr_b32 v67, v43, v44 offset0:198 offset1:199
	ds_store_2addr_b32 v67, v36, v45 offset0:2 offset1:200
	v_add_nc_u32_e32 v29, 0, v22
	v_add_nc_u32_e32 v68, 0x630, v67
	v_pack_b32_f16 v46, v39, v40
	v_pack_b32_f16 v48, v37, v38
	v_add_nc_u32_e32 v28, v56, v22
	v_pack_b32_f16 v49, v41, v42
	v_add_nc_u32_e32 v29, v29, v30
	ds_store_2addr_b32 v68, v48, v46 offset1:1
	ds_store_b32 v67, v49 offset:1592
	global_wb scope:SCOPE_SE
	s_wait_dscnt 0x0
	s_wait_kmcnt 0x0
	s_barrier_signal -1
	s_barrier_wait -1
	global_inv scope:SCOPE_SE
	ds_load_u16 v36, v28
	ds_load_u16 v57, v29 offset:216
	ds_load_u16 v56, v29 offset:432
	;; [unrolled: 1-line block ×10, first 2 shown]
	v_add_nc_u32_e32 v70, 0x318, v67
	v_cmp_gt_u32_e64 s0, 42, v18
                                        ; implicit-def: $vgpr43
                                        ; implicit-def: $vgpr44
                                        ; implicit-def: $vgpr45
                                        ; implicit-def: $vgpr46
	s_delay_alu instid0(VALU_DEP_1)
	s_and_saveexec_b32 s1, s0
	s_cbranch_execz .LBB0_14
; %bb.13:
	ds_load_u16 v32, v29 offset:132
	ds_load_u16 v37, v29 offset:348
	;; [unrolled: 1-line block ×11, first 2 shown]
.LBB0_14:
	s_wait_alu 0xfffe
	s_or_b32 exec_lo, exec_lo, s1
	v_add_f16_e32 v71, v62, v59
	v_add_f16_e32 v62, v23, v62
	v_sub_f16_e32 v9, v9, v12
	v_add_f16_e32 v12, v58, v61
	v_mul_f16_e32 v1, 0x3aee, v1
	v_fmac_f16_e32 v23, -0.5, v71
	v_mul_f16_e32 v0, -0.5, v0
	v_add_f16_e32 v58, v62, v59
	v_add_f16_e32 v12, v12, v60
	v_fmac_f16_e32 v1, 0.5, v3
	v_fmamk_f16 v3, v9, 0x3aee, v23
	v_fmac_f16_e32 v0, 0x3aee, v2
	v_fmac_f16_e32 v23, 0xbaee, v9
	v_add_f16_e32 v60, v47, v34
	v_sub_f16_e32 v8, v8, v11
	v_add_f16_e32 v9, v3, v1
	v_sub_f16_e32 v1, v3, v1
	v_add_f16_e32 v59, v23, v0
	v_sub_f16_e32 v0, v23, v0
	v_add_f16_e32 v3, v7, v47
	v_fmac_f16_e32 v7, -0.5, v60
	v_add_f16_e32 v23, v31, v35
	v_mul_f16_e32 v4, -0.5, v4
	v_mul_f16_e32 v11, 0x3aee, v64
	v_add_f16_e32 v3, v3, v34
	v_fmamk_f16 v31, v8, 0x3aee, v7
	v_add_f16_e32 v23, v23, v33
	v_fmac_f16_e32 v7, 0xbaee, v8
	v_add_f16_e32 v8, v25, v26
	v_fmac_f16_e32 v4, 0x3aee, v5
	v_add_f16_e32 v25, v10, v25
	v_add_f16_e32 v5, v3, v23
	v_sub_f16_e32 v3, v3, v23
	v_fmac_f16_e32 v10, -0.5, v8
	v_sub_f16_e32 v8, v13, v14
	v_add_f16_e32 v14, v15, v24
	v_mul_f16_e32 v15, 0x3aee, v69
	v_mul_f16_e32 v23, -0.5, v65
	v_fmac_f16_e32 v11, 0.5, v63
	v_add_f16_e32 v13, v25, v26
	v_fmamk_f16 v24, v8, 0x3aee, v10
	v_fmac_f16_e32 v10, 0xbaee, v8
	v_add_f16_e32 v8, v14, v19
	v_fmac_f16_e32 v15, 0.5, v66
	v_fmac_f16_e32 v23, 0x3aee, v6
	v_add_f16_e32 v2, v58, v12
	v_sub_f16_e32 v12, v58, v12
	v_add_f16_e32 v33, v31, v11
	v_add_f16_e32 v34, v7, v4
	v_sub_f16_e32 v6, v31, v11
	v_sub_f16_e32 v19, v7, v4
	v_add_f16_e32 v60, v13, v8
	v_add_f16_e32 v61, v24, v15
	;; [unrolled: 1-line block ×3, first 2 shown]
	v_sub_f16_e32 v63, v13, v8
	v_sub_f16_e32 v64, v24, v15
	;; [unrolled: 1-line block ×3, first 2 shown]
	v_pack_b32_f16 v4, v59, v12
	v_pack_b32_f16 v2, v2, v9
	;; [unrolled: 1-line block ×8, first 2 shown]
	global_wb scope:SCOPE_SE
	s_wait_dscnt 0x0
	s_barrier_signal -1
	s_barrier_wait -1
	global_inv scope:SCOPE_SE
	v_pack_b32_f16 v8, v64, v65
	ds_store_2addr_b32 v67, v2, v4 offset1:1
	ds_store_b32 v67, v0 offset:8
	ds_store_2addr_b32 v70, v3, v1 offset1:1
	ds_store_b32 v70, v5 offset:8
	ds_store_2addr_b32 v68, v7, v6 offset1:1
	ds_store_b32 v68, v8 offset:8
	global_wb scope:SCOPE_SE
	s_wait_dscnt 0x0
	s_barrier_signal -1
	s_barrier_wait -1
	global_inv scope:SCOPE_SE
	ds_load_u16 v33, v28
	ds_load_u16 v81, v29 offset:216
	ds_load_u16 v80, v29 offset:432
	;; [unrolled: 1-line block ×10, first 2 shown]
                                        ; implicit-def: $vgpr68
                                        ; implicit-def: $vgpr69
                                        ; implicit-def: $vgpr70
                                        ; implicit-def: $vgpr71
	s_and_saveexec_b32 s1, s0
	s_cbranch_execz .LBB0_16
; %bb.15:
	ds_load_u16 v19, v29 offset:132
	ds_load_u16 v60, v29 offset:348
	;; [unrolled: 1-line block ×11, first 2 shown]
.LBB0_16:
	s_wait_alu 0xfffe
	s_or_b32 exec_lo, exec_lo, s1
	v_and_b32_e32 v0, 0xff, v18
	v_add_nc_u32_e32 v31, 0x42, v18
	s_delay_alu instid0(VALU_DEP_2) | instskip(NEXT) | instid1(VALU_DEP_1)
	v_mul_lo_u16 v0, 0xab, v0
	v_lshrrev_b16 v34, 10, v0
	s_delay_alu instid0(VALU_DEP_1) | instskip(SKIP_1) | instid1(VALU_DEP_2)
	v_mul_lo_u16 v0, v34, 6
	v_and_b32_e32 v34, 0xffff, v34
	v_sub_nc_u16 v0, v18, v0
	s_delay_alu instid0(VALU_DEP_2) | instskip(NEXT) | instid1(VALU_DEP_2)
	v_mad_u32_u24 v34, 0x84, v34, 0
	v_and_b32_e32 v35, 0xff, v0
	v_and_b32_e32 v0, 0xff, v31
	s_delay_alu instid0(VALU_DEP_2) | instskip(NEXT) | instid1(VALU_DEP_2)
	v_mul_u32_u24_e32 v1, 10, v35
	v_mul_lo_u16 v0, 0xab, v0
	v_lshlrev_b32_e32 v59, 1, v35
	s_delay_alu instid0(VALU_DEP_3) | instskip(NEXT) | instid1(VALU_DEP_3)
	v_lshlrev_b32_e32 v1, 2, v1
	v_lshrrev_b16 v47, 10, v0
	s_clause 0x1
	global_load_b128 v[12:15], v1, s[8:9]
	global_load_b128 v[8:11], v1, s[8:9] offset:16
	v_mul_lo_u16 v0, v47, 6
	global_load_b64 v[23:24], v1, s[8:9] offset:32
	v_and_b32_e32 v35, 0xffff, v47
	v_add3_u32 v47, v34, v59, v30
	v_sub_nc_u16 v0, v31, v0
	s_delay_alu instid0(VALU_DEP_1) | instskip(NEXT) | instid1(VALU_DEP_1)
	v_and_b32_e32 v58, 0xff, v0
	v_mul_u32_u24_e32 v0, 10, v58
	v_lshlrev_b32_e32 v34, 1, v58
	s_delay_alu instid0(VALU_DEP_2)
	v_lshlrev_b32_e32 v25, 2, v0
	s_clause 0x2
	global_load_b128 v[0:3], v25, s[8:9]
	global_load_b128 v[4:7], v25, s[8:9] offset:16
	global_load_b64 v[25:26], v25, s[8:9] offset:32
	global_wb scope:SCOPE_SE
	s_wait_loadcnt_dscnt 0x0
	s_barrier_signal -1
	s_barrier_wait -1
	global_inv scope:SCOPE_SE
	v_lshrrev_b32_e32 v58, 16, v12
	v_lshrrev_b32_e32 v59, 16, v13
	v_lshrrev_b32_e32 v66, 16, v14
	v_lshrrev_b32_e32 v67, 16, v15
	v_lshrrev_b32_e32 v83, 16, v8
	v_lshrrev_b32_e32 v85, 16, v9
	v_lshrrev_b32_e32 v87, 16, v10
	v_lshrrev_b32_e32 v88, 16, v11
	v_lshrrev_b32_e32 v89, 16, v23
	v_lshrrev_b32_e32 v90, 16, v24
	v_mul_f16_e32 v86, v81, v58
	v_mul_f16_e32 v91, v57, v58
	;; [unrolled: 1-line block ×20, first 2 shown]
	v_lshrrev_b32_e32 v98, 16, v0
	v_lshrrev_b32_e32 v100, 16, v2
	;; [unrolled: 1-line block ×10, first 2 shown]
	v_fmac_f16_e32 v86, v57, v12
	v_fma_f16 v81, v81, v12, -v91
	v_fmac_f16_e32 v84, v56, v13
	v_fma_f16 v80, v80, v13, -v92
	;; [unrolled: 2-line block ×8, first 2 shown]
	v_fma_f16 v73, v73, v23, -v89
	v_fmac_f16_e32 v87, v48, v24
	v_fma_f16 v24, v72, v24, -v90
	v_mul_f16_e32 v50, v60, v98
	v_mul_f16_e32 v14, v37, v98
	;; [unrolled: 1-line block ×12, first 2 shown]
	v_fmac_f16_e32 v85, v49, v23
	v_mul_f16_e32 v23, v61, v99
	v_mul_f16_e32 v49, v38, v99
	;; [unrolled: 1-line block ×8, first 2 shown]
	v_fmac_f16_e32 v50, v37, v0
	v_fma_f16 v52, v60, v0, -v14
	v_fmac_f16_e32 v12, v39, v2
	v_fma_f16 v14, v62, v2, -v72
	;; [unrolled: 2-line block ×3, first 2 shown]
	v_fmac_f16_e32 v8, v41, v4
	v_fmac_f16_e32 v9, v42, v5
	;; [unrolled: 1-line block ×3, first 2 shown]
	v_fma_f16 v3, v71, v6, -v77
	v_fmac_f16_e32 v48, v44, v25
	v_fma_f16 v6, v69, v25, -v79
	v_sub_f16_e32 v25, v81, v24
	v_sub_f16_e32 v37, v80, v73
	;; [unrolled: 1-line block ×5, first 2 shown]
	v_add_f16_e32 v44, v36, v86
	v_fmac_f16_e32 v23, v38, v1
	v_fma_f16 v49, v61, v1, -v49
	v_fma_f16 v0, v64, v4, -v75
	;; [unrolled: 1-line block ×3, first 2 shown]
	v_fmac_f16_e32 v13, v45, v7
	v_fma_f16 v4, v70, v7, -v78
	v_fmac_f16_e32 v51, v43, v26
	v_fma_f16 v5, v68, v26, -v88
	v_add_f16_e32 v7, v86, v87
	v_add_f16_e32 v26, v84, v85
	v_add_f16_e32 v38, v82, v83
	v_add_f16_e32 v40, v66, v67
	v_add_f16_e32 v43, v58, v59
	v_mul_f16_e32 v45, 0xb853, v25
	v_mul_f16_e32 v46, 0xbb47, v25
	v_mul_f16_e32 v60, 0xbbeb, v25
	v_mul_f16_e32 v61, 0xba0c, v25
	v_mul_f16_e32 v25, 0xb482, v25
	v_mul_f16_e32 v62, 0xbb47, v37
	v_mul_f16_e32 v63, 0xba0c, v37
	v_mul_f16_e32 v64, 0x3482, v37
	v_mul_f16_e32 v65, 0x3beb, v37
	v_mul_f16_e32 v37, 0x3853, v37
	v_mul_f16_e32 v68, 0xbbeb, v39
	v_mul_f16_e32 v69, 0x3482, v39
	v_mul_f16_e32 v70, 0x3b47, v39
	v_mul_f16_e32 v71, 0xb853, v39
	v_mul_f16_e32 v39, 0xba0c, v39
	v_mul_f16_e32 v72, 0xba0c, v41
	v_mul_f16_e32 v74, 0x3beb, v41
	v_mul_f16_e32 v75, 0xb853, v41
	v_mul_f16_e32 v76, 0xb482, v41
	v_mul_f16_e32 v41, 0x3b47, v41
	v_mul_f16_e32 v77, 0xb482, v42
	v_mul_f16_e32 v78, 0x3853, v42
	v_mul_f16_e32 v79, 0xba0c, v42
	v_mul_f16_e32 v88, 0x3b47, v42
	v_mul_f16_e32 v42, 0xbbeb, v42
	v_add_f16_e32 v44, v44, v84
	v_fmamk_f16 v89, v7, 0x3abb, v45
	v_fma_f16 v45, v7, 0x3abb, -v45
	v_fmamk_f16 v90, v7, 0x36a6, v46
	v_fma_f16 v46, v7, 0x36a6, -v46
	;; [unrolled: 2-line block ×25, first 2 shown]
	v_add_f16_e32 v43, v44, v82
	v_add_f16_e32 v44, v36, v89
	;; [unrolled: 1-line block ×58, first 2 shown]
	ds_store_b16 v47, v37 offset:24
	ds_store_b16 v47, v39 offset:36
	;; [unrolled: 1-line block ×7, first 2 shown]
	ds_store_b16 v47, v36
	ds_store_b16 v47, v40 offset:96
	ds_store_b16 v47, v38 offset:108
	;; [unrolled: 1-line block ×3, first 2 shown]
	s_and_saveexec_b32 s1, s0
	s_cbranch_execz .LBB0_18
; %bb.17:
	v_sub_f16_e32 v26, v52, v5
	v_add_f16_e32 v25, v50, v51
	v_sub_f16_e32 v37, v49, v6
	v_add_f16_e32 v36, v23, v48
	v_sub_f16_e32 v39, v14, v4
	v_mul_f16_e32 v44, 0xb482, v26
	v_add_f16_e32 v38, v12, v13
	v_mul_f16_e32 v45, 0x3853, v37
	v_sub_f16_e32 v41, v2, v3
	v_mul_f16_e32 v46, 0xba0c, v39
	v_fma_f16 v62, v25, 0xbbad, -v44
	v_add_f16_e32 v40, v10, v11
	v_fma_f16 v65, v36, 0x3abb, -v45
	v_sub_f16_e32 v43, v0, v1
	v_mul_f16_e32 v60, 0x3b47, v41
	v_add_f16_e32 v62, v32, v62
	v_fma_f16 v68, v38, 0xb93d, -v46
	v_fmac_f16_e32 v44, 0xbbad, v25
	v_add_f16_e32 v42, v8, v9
	v_mul_f16_e32 v61, 0xbbeb, v43
	v_add_f16_e32 v62, v65, v62
	v_mul_f16_e32 v63, 0xba0c, v26
	v_fma_f16 v69, v40, 0x36a6, -v60
	v_fmac_f16_e32 v45, 0x3abb, v36
	v_add_f16_e32 v44, v32, v44
	v_add_f16_e32 v62, v68, v62
	v_mul_f16_e32 v64, 0x3beb, v37
	v_fma_f16 v65, v42, 0xb08e, -v61
	v_fmac_f16_e32 v46, 0xb93d, v38
	v_fma_f16 v68, v25, 0xb93d, -v63
	v_add_f16_e32 v44, v45, v44
	v_add_f16_e32 v45, v69, v62
	v_fmac_f16_e32 v60, 0x36a6, v40
	v_fmac_f16_e32 v61, 0xb08e, v42
	v_add_f16_e32 v62, v32, v68
	v_add_f16_e32 v44, v46, v44
	v_add_f16_e32 v45, v65, v45
	v_fma_f16 v46, v36, 0xb08e, -v64
	v_mul_f16_e32 v65, 0xb853, v39
	v_fmac_f16_e32 v63, 0xb93d, v25
	v_add_f16_e32 v44, v60, v44
	v_fmac_f16_e32 v64, 0xb08e, v36
	v_add_f16_e32 v46, v46, v62
	v_fma_f16 v60, v38, 0x3abb, -v65
	v_mul_f16_e32 v62, 0xb482, v41
	v_add_f16_e32 v44, v61, v44
	v_add_f16_e32 v61, v32, v63
	v_mul_f16_e32 v63, 0xbbeb, v26
	v_add_f16_e32 v46, v60, v46
	v_fma_f16 v60, v40, 0xbbad, -v62
	v_fmac_f16_e32 v65, 0x3abb, v38
	v_add_f16_e32 v61, v64, v61
	v_mul_f16_e32 v64, 0x3482, v37
	v_add_f16_e32 v7, v32, v50
	v_add_f16_e32 v46, v60, v46
	v_fma_f16 v60, v25, 0xb08e, -v63
	v_fmac_f16_e32 v63, 0xb08e, v25
	v_mul_f16_e32 v68, 0x3b47, v43
	v_add_f16_e32 v61, v65, v61
	v_fmac_f16_e32 v62, 0xbbad, v40
	v_add_f16_e32 v60, v32, v60
	v_fma_f16 v65, v36, 0xbbad, -v64
	v_mul_f16_e32 v70, 0x3b47, v39
	v_add_f16_e32 v63, v32, v63
	v_fmac_f16_e32 v64, 0xbbad, v36
	v_add_f16_e32 v7, v7, v23
	v_fma_f16 v69, v42, 0x36a6, -v68
	v_add_f16_e32 v61, v62, v61
	v_add_f16_e32 v60, v65, v60
	v_fma_f16 v62, v38, 0x36a6, -v70
	v_mul_f16_e32 v65, 0xb853, v41
	v_fmac_f16_e32 v68, 0x36a6, v42
	v_add_f16_e32 v63, v64, v63
	v_fmac_f16_e32 v70, 0x36a6, v38
	v_add_f16_e32 v7, v7, v12
	v_add_f16_e32 v46, v69, v46
	;; [unrolled: 1-line block ×3, first 2 shown]
	v_fma_f16 v62, v40, 0x3abb, -v65
	v_mul_f16_e32 v69, 0xbb47, v26
	v_add_f16_e32 v61, v68, v61
	v_mul_f16_e32 v68, 0xba0c, v43
	v_add_f16_e32 v63, v70, v63
	v_fmac_f16_e32 v65, 0x3abb, v40
	v_add_f16_e32 v7, v7, v10
	v_add_f16_e32 v60, v62, v60
	v_fma_f16 v62, v25, 0x36a6, -v69
	v_mul_f16_e32 v64, 0xba0c, v37
	v_fma_f16 v72, v42, 0xb93d, -v68
	v_add_f16_e32 v63, v65, v63
	v_fmac_f16_e32 v68, 0xb93d, v42
	v_fmac_f16_e32 v69, 0x36a6, v25
	v_mul_f16_e32 v26, 0xb853, v26
	v_add_f16_e32 v7, v7, v8
	v_fma_f16 v70, v36, 0xb93d, -v64
	v_add_f16_e32 v60, v72, v60
	v_add_f16_e32 v63, v68, v63
	;; [unrolled: 1-line block ×3, first 2 shown]
	v_fmac_f16_e32 v64, 0xb93d, v36
	v_mul_f16_e32 v37, 0xbb47, v37
	v_fma_f16 v72, v25, 0x3abb, -v26
	v_fmac_f16_e32 v26, 0x3abb, v25
	v_add_f16_e32 v7, v7, v9
	v_add_f16_e32 v62, v32, v62
	v_mul_f16_e32 v71, 0x3482, v39
	v_add_f16_e32 v25, v64, v68
	v_fma_f16 v64, v36, 0x36a6, -v37
	v_mul_f16_e32 v39, 0xbbeb, v39
	v_add_f16_e32 v26, v32, v26
	v_fmac_f16_e32 v37, 0x36a6, v36
	v_add_f16_e32 v7, v7, v11
	v_add_f16_e32 v32, v32, v72
	;; [unrolled: 1-line block ×3, first 2 shown]
	v_mul_f16_e32 v70, 0x3beb, v41
	v_fma_f16 v36, v38, 0xb08e, -v39
	v_mul_f16_e32 v41, 0xba0c, v41
	v_add_f16_e32 v26, v37, v26
	v_fmac_f16_e32 v39, 0xb08e, v38
	v_fma_f16 v65, v38, 0xbbad, -v71
	v_fmac_f16_e32 v71, 0xbbad, v38
	v_add_f16_e32 v7, v7, v13
	v_add_f16_e32 v32, v64, v32
	v_fma_f16 v37, v40, 0xb93d, -v41
	v_mul_f16_e32 v38, 0xb482, v43
	v_add_f16_e32 v26, v39, v26
	v_fmac_f16_e32 v41, 0xb93d, v40
	v_add_f16_e32 v62, v65, v62
	v_fma_f16 v65, v40, 0xb08e, -v70
	v_mul_f16_e32 v69, 0x3853, v43
	v_add_f16_e32 v25, v71, v25
	v_fmac_f16_e32 v70, 0xb08e, v40
	v_add_f16_e32 v7, v7, v48
	v_add_f16_e32 v32, v36, v32
	v_mad_u32_u24 v40, 0x84, v35, 0
	v_fma_f16 v36, v42, 0xbbad, -v38
	v_add_f16_e32 v26, v41, v26
	v_fmac_f16_e32 v38, 0xbbad, v42
	v_fma_f16 v39, v42, 0x3abb, -v69
	v_add_f16_e32 v25, v70, v25
	v_fmac_f16_e32 v69, 0x3abb, v42
	v_add_f16_e32 v7, v7, v51
	v_add_f16_e32 v41, v65, v62
	v_add_f16_e32 v32, v37, v32
	v_add3_u32 v37, v40, v34, v30
	v_add_f16_e32 v26, v38, v26
	v_add_f16_e32 v25, v69, v25
	v_add_f16_e32 v38, v39, v41
	v_add_f16_e32 v32, v36, v32
	ds_store_b16 v37, v7
	ds_store_b16 v37, v26 offset:12
	ds_store_b16 v37, v25 offset:24
	;; [unrolled: 1-line block ×10, first 2 shown]
.LBB0_18:
	s_wait_alu 0xfffe
	s_or_b32 exec_lo, exec_lo, s1
	v_add_f16_e32 v7, v33, v81
	v_add_f16_e32 v25, v81, v24
	v_sub_f16_e32 v26, v86, v87
	v_add_f16_e32 v32, v80, v73
	v_sub_f16_e32 v36, v84, v85
	v_add_f16_e32 v7, v7, v80
	v_mul_f16_e32 v37, 0x3abb, v25
	v_mul_f16_e32 v38, 0x36a6, v25
	;; [unrolled: 1-line block ×4, first 2 shown]
	v_add_f16_e32 v7, v7, v56
	v_mul_f16_e32 v25, 0xbbad, v25
	v_mul_f16_e32 v41, 0x36a6, v32
	v_fmamk_f16 v44, v26, 0x3853, v37
	v_fmac_f16_e32 v37, 0xb853, v26
	v_add_f16_e32 v7, v7, v54
	v_mul_f16_e32 v43, 0xbbad, v32
	v_fmamk_f16 v45, v26, 0x3b47, v38
	v_fmac_f16_e32 v38, 0xbb47, v26
	v_fmamk_f16 v46, v26, 0x3beb, v39
	v_add_f16_e32 v7, v7, v15
	v_fmac_f16_e32 v39, 0xbbeb, v26
	v_fmamk_f16 v60, v26, 0x3a0c, v40
	v_fmac_f16_e32 v40, 0xba0c, v26
	v_fmamk_f16 v61, v26, 0x3482, v25
	v_add_f16_e32 v7, v7, v53
	v_fmac_f16_e32 v25, 0xb482, v26
	v_fmamk_f16 v26, v36, 0x3b47, v41
	v_fmac_f16_e32 v41, 0xbb47, v36
	v_add_f16_e32 v37, v33, v37
	v_add_f16_e32 v7, v7, v55
	v_mul_f16_e32 v42, 0xb93d, v32
	v_add_f16_e32 v39, v33, v39
	v_add_f16_e32 v44, v33, v44
	v_add_f16_e32 v45, v33, v45
	v_add_f16_e32 v7, v7, v57
	v_fmamk_f16 v62, v36, 0x3a0c, v42
	v_add_f16_e32 v38, v33, v38
	v_add_f16_e32 v46, v33, v46
	;; [unrolled: 1-line block ×7, first 2 shown]
	v_fmac_f16_e32 v42, 0xba0c, v36
	v_add_f16_e32 v7, v7, v24
	v_add_f16_e32 v24, v41, v37
	v_fmamk_f16 v37, v36, 0xb482, v43
	v_fmac_f16_e32 v43, 0x3482, v36
	v_mul_f16_e32 v33, 0xb08e, v32
	v_mul_f16_e32 v32, 0x3abb, v32
	v_add_f16_e32 v26, v26, v44
	v_add_f16_e32 v41, v62, v45
	;; [unrolled: 1-line block ×5, first 2 shown]
	v_fmamk_f16 v42, v36, 0xbbeb, v33
	v_add_f16_e32 v37, v37, v46
	v_fmac_f16_e32 v33, 0x3beb, v36
	v_fmamk_f16 v44, v36, 0xb853, v32
	v_sub_f16_e32 v45, v82, v83
	v_mul_f16_e32 v46, 0xb08e, v43
	v_fmac_f16_e32 v32, 0x3853, v36
	v_add_f16_e32 v33, v33, v40
	v_add_f16_e32 v36, v44, v61
	v_mul_f16_e32 v40, 0xbbad, v43
	v_fmamk_f16 v44, v45, 0x3beb, v46
	v_add_f16_e32 v25, v32, v25
	v_mul_f16_e32 v32, 0x36a6, v43
	v_add_f16_e32 v42, v42, v60
	v_fmamk_f16 v56, v45, 0xb482, v40
	v_add_f16_e32 v26, v44, v26
	v_fmac_f16_e32 v40, 0x3482, v45
	v_fmamk_f16 v44, v45, 0xbb47, v32
	v_fmac_f16_e32 v32, 0x3b47, v45
	v_fmac_f16_e32 v46, 0xbbeb, v45
	v_add_f16_e32 v41, v56, v41
	v_add_f16_e32 v38, v40, v38
	v_mul_f16_e32 v40, 0x3abb, v43
	v_add_f16_e32 v32, v32, v39
	v_add_f16_e32 v39, v54, v55
	;; [unrolled: 1-line block ×3, first 2 shown]
	v_mul_f16_e32 v43, 0xb93d, v43
	v_fmamk_f16 v44, v45, 0x3853, v40
	v_fmac_f16_e32 v40, 0xb853, v45
	v_sub_f16_e32 v54, v66, v67
	v_mul_f16_e32 v55, 0xb93d, v39
	v_add_f16_e32 v24, v46, v24
	v_fmamk_f16 v46, v45, 0x3a0c, v43
	v_add_f16_e32 v42, v44, v42
	v_add_f16_e32 v33, v40, v33
	v_fmac_f16_e32 v43, 0xba0c, v45
	v_fmamk_f16 v40, v54, 0x3a0c, v55
	v_mul_f16_e32 v44, 0xb08e, v39
	v_add_f16_e32 v36, v46, v36
	v_mul_f16_e32 v46, 0xbbad, v39
	v_add_f16_e32 v25, v43, v25
	v_mul_f16_e32 v43, 0x3abb, v39
	v_add_f16_e32 v26, v40, v26
	v_fmamk_f16 v40, v54, 0xbbeb, v44
	v_fmac_f16_e32 v55, 0xba0c, v54
	v_mul_f16_e32 v39, 0x36a6, v39
	v_fmamk_f16 v45, v54, 0x3853, v43
	v_fmac_f16_e32 v43, 0xb853, v54
	v_add_f16_e32 v40, v40, v41
	v_fmamk_f16 v41, v54, 0x3482, v46
	v_add_f16_e32 v15, v15, v53
	v_add_f16_e32 v24, v55, v24
	;; [unrolled: 1-line block ×3, first 2 shown]
	v_fmac_f16_e32 v46, 0xb482, v54
	v_add_f16_e32 v55, v41, v42
	v_fmamk_f16 v41, v54, 0xbb47, v39
	v_sub_f16_e32 v42, v58, v59
	v_mul_f16_e32 v43, 0xbbad, v15
	v_fmac_f16_e32 v39, 0x3b47, v54
	v_fmac_f16_e32 v44, 0x3beb, v54
	v_add_f16_e32 v56, v46, v33
	v_mul_f16_e32 v33, 0x3abb, v15
	v_add_f16_e32 v54, v41, v36
	v_fmamk_f16 v36, v42, 0x3482, v43
	v_fmac_f16_e32 v43, 0xb482, v42
	v_add_f16_e32 v57, v39, v25
	v_mul_f16_e32 v39, 0xb93d, v15
	v_add_f16_e32 v38, v44, v38
	v_add_f16_e32 v37, v45, v37
	v_fmamk_f16 v25, v42, 0xb853, v33
	v_add_f16_e32 v59, v43, v24
	v_fmac_f16_e32 v33, 0x3853, v42
	v_fmamk_f16 v24, v42, 0x3a0c, v39
	v_fmac_f16_e32 v39, 0xba0c, v42
	v_mul_f16_e32 v61, 0x36a6, v15
	v_mul_f16_e32 v63, 0xb08e, v15
	v_add_f16_e32 v58, v36, v26
	v_add_f16_e32 v60, v25, v40
	;; [unrolled: 1-line block ×5, first 2 shown]
	v_fmamk_f16 v66, v42, 0xbb47, v61
	v_fmac_f16_e32 v61, 0x3b47, v42
	v_fmamk_f16 v67, v42, 0x3beb, v63
	v_fmac_f16_e32 v63, 0xbbeb, v42
	global_wb scope:SCOPE_SE
	s_wait_dscnt 0x0
	s_barrier_signal -1
	s_barrier_wait -1
	global_inv scope:SCOPE_SE
	ds_load_u16 v44, v29 offset:1320
	ds_load_u16 v37, v29 offset:1452
	;; [unrolled: 1-line block ×6, first 2 shown]
	ds_load_u16 v46, v28
	ds_load_u16 v45, v29 offset:132
	ds_load_u16 v36, v29 offset:264
	;; [unrolled: 1-line block ×11, first 2 shown]
	v_add_f16_e32 v55, v66, v55
	v_add_f16_e32 v56, v61, v56
	;; [unrolled: 1-line block ×4, first 2 shown]
	global_wb scope:SCOPE_SE
	s_wait_dscnt 0x0
	s_barrier_signal -1
	s_barrier_wait -1
	global_inv scope:SCOPE_SE
	ds_store_b16 v47, v7
	ds_store_b16 v47, v58 offset:12
	ds_store_b16 v47, v60 offset:24
	;; [unrolled: 1-line block ×10, first 2 shown]
	s_and_saveexec_b32 s1, s0
	s_cbranch_execz .LBB0_20
; %bb.19:
	v_add_f16_e32 v7, v19, v52
	v_add_f16_e32 v47, v52, v5
	v_sub_f16_e32 v50, v50, v51
	v_add_f16_e32 v51, v49, v6
	v_sub_f16_e32 v23, v23, v48
	v_add_f16_e32 v7, v7, v49
	v_mul_f16_e32 v48, 0x3abb, v47
	v_mul_f16_e32 v49, 0x36a6, v47
	;; [unrolled: 1-line block ×4, first 2 shown]
	v_add_f16_e32 v7, v7, v14
	v_mul_f16_e32 v47, 0xbbad, v47
	v_mul_f16_e32 v55, 0x36a6, v51
	v_fmamk_f16 v58, v50, 0x3853, v48
	v_fmac_f16_e32 v48, 0xb853, v50
	v_add_f16_e32 v7, v7, v2
	v_mul_f16_e32 v56, 0xb93d, v51
	v_fmamk_f16 v59, v50, 0x3b47, v49
	v_fmac_f16_e32 v49, 0xbb47, v50
	v_fmamk_f16 v60, v50, 0x3beb, v52
	v_add_f16_e32 v7, v7, v0
	v_fmac_f16_e32 v52, 0xbbeb, v50
	v_fmamk_f16 v61, v50, 0x3a0c, v54
	v_fmac_f16_e32 v54, 0xba0c, v50
	v_fmamk_f16 v62, v50, 0x3482, v47
	v_add_f16_e32 v7, v7, v1
	v_fmac_f16_e32 v47, 0xb482, v50
	v_fmamk_f16 v50, v23, 0x3b47, v55
	v_fmac_f16_e32 v55, 0xbb47, v23
	v_add_f16_e32 v48, v19, v48
	v_add_f16_e32 v7, v7, v3
	v_mul_f16_e32 v57, 0xbbad, v51
	v_fmamk_f16 v63, v23, 0x3a0c, v56
	v_add_f16_e32 v49, v19, v49
	v_fmac_f16_e32 v56, 0xba0c, v23
	v_add_f16_e32 v7, v7, v4
	v_add_f16_e32 v4, v14, v4
	;; [unrolled: 1-line block ×3, first 2 shown]
	v_sub_f16_e32 v12, v12, v13
	v_add_f16_e32 v49, v56, v49
	v_add_f16_e32 v6, v7, v6
	;; [unrolled: 1-line block ×4, first 2 shown]
	v_mul_f16_e32 v13, 0xb08e, v4
	v_add_f16_e32 v59, v19, v59
	v_add_f16_e32 v5, v6, v5
	;; [unrolled: 1-line block ×3, first 2 shown]
	v_mul_f16_e32 v55, 0xb08e, v51
	v_mul_f16_e32 v51, 0x3abb, v51
	v_add_f16_e32 v60, v19, v60
	v_add_f16_e32 v52, v19, v52
	;; [unrolled: 1-line block ×3, first 2 shown]
	v_fmamk_f16 v14, v23, 0xbbeb, v55
	v_fmac_f16_e32 v55, 0x3beb, v23
	v_fmamk_f16 v56, v23, 0xb853, v51
	v_add_f16_e32 v19, v19, v47
	v_add_f16_e32 v47, v50, v58
	v_fmamk_f16 v48, v23, 0xb482, v57
	v_fmac_f16_e32 v57, 0x3482, v23
	v_fmac_f16_e32 v51, 0x3853, v23
	v_add_f16_e32 v7, v55, v7
	v_add_f16_e32 v23, v56, v54
	v_fmamk_f16 v54, v12, 0x3beb, v13
	v_mul_f16_e32 v55, 0xbbad, v4
	v_add_f16_e32 v50, v63, v59
	v_add_f16_e32 v19, v51, v19
	v_fmac_f16_e32 v13, 0xbbeb, v12
	v_mul_f16_e32 v51, 0x36a6, v4
	v_add_f16_e32 v47, v54, v47
	v_fmamk_f16 v54, v12, 0xb482, v55
	v_add_f16_e32 v48, v48, v60
	v_add_f16_e32 v52, v57, v52
	;; [unrolled: 1-line block ×3, first 2 shown]
	v_fmamk_f16 v13, v12, 0xbb47, v51
	v_fmac_f16_e32 v51, 0x3b47, v12
	v_add_f16_e32 v50, v54, v50
	v_mul_f16_e32 v54, 0x3abb, v4
	v_add_f16_e32 v2, v2, v3
	v_mul_f16_e32 v3, 0xb93d, v4
	v_add_f16_e32 v14, v14, v61
	v_add_f16_e32 v13, v13, v48
	;; [unrolled: 1-line block ×3, first 2 shown]
	v_fmamk_f16 v4, v12, 0x3853, v54
	v_sub_f16_e32 v10, v10, v11
	v_mul_f16_e32 v11, 0xb93d, v2
	v_fmamk_f16 v51, v12, 0x3a0c, v3
	v_fmac_f16_e32 v55, 0x3482, v12
	v_fmac_f16_e32 v54, 0xb853, v12
	v_add_f16_e32 v4, v4, v14
	v_fmac_f16_e32 v3, 0xba0c, v12
	v_fmamk_f16 v12, v10, 0x3a0c, v11
	v_add_f16_e32 v14, v51, v23
	v_mul_f16_e32 v23, 0xb08e, v2
	v_fmac_f16_e32 v11, 0xba0c, v10
	v_add_f16_e32 v49, v55, v49
	v_add_f16_e32 v12, v12, v47
	v_add_f16_e32 v3, v3, v19
	v_fmamk_f16 v47, v10, 0xbbeb, v23
	v_add_f16_e32 v6, v11, v6
	v_fmac_f16_e32 v23, 0x3beb, v10
	v_mul_f16_e32 v11, 0xbbad, v2
	v_mul_f16_e32 v19, 0x3abb, v2
	;; [unrolled: 1-line block ×3, first 2 shown]
	v_add_f16_e32 v0, v0, v1
	v_add_f16_e32 v23, v23, v49
	v_fmamk_f16 v49, v10, 0x3482, v11
	v_add_f16_e32 v7, v54, v7
	v_fmac_f16_e32 v11, 0xb482, v10
	v_sub_f16_e32 v8, v8, v9
	v_mul_f16_e32 v9, 0xbbad, v0
	v_add_f16_e32 v1, v49, v4
	v_fmamk_f16 v4, v10, 0xbb47, v2
	v_fmac_f16_e32 v2, 0x3b47, v10
	v_fmamk_f16 v51, v10, 0x3853, v19
	v_fmac_f16_e32 v19, 0xb853, v10
	v_mul_f16_e32 v10, 0x3abb, v0
	v_add_f16_e32 v7, v11, v7
	v_fmamk_f16 v11, v8, 0x3482, v9
	v_add_f16_e32 v2, v2, v3
	v_fmac_f16_e32 v9, 0xb482, v8
	v_mul_f16_e32 v3, 0xb93d, v0
	v_add_f16_e32 v47, v47, v50
	v_add_f16_e32 v4, v4, v14
	v_fmamk_f16 v14, v8, 0xb853, v10
	v_add_f16_e32 v13, v51, v13
	v_add_f16_e32 v6, v9, v6
	v_fmamk_f16 v9, v8, 0x3a0c, v3
	v_add_f16_e32 v19, v19, v48
	v_add_f16_e32 v11, v11, v12
	;; [unrolled: 1-line block ×3, first 2 shown]
	v_fmac_f16_e32 v3, 0xba0c, v8
	v_mul_f16_e32 v14, 0x36a6, v0
	v_fmac_f16_e32 v10, 0x3853, v8
	v_add_f16_e32 v9, v9, v13
	v_mul_f16_e32 v0, 0xb08e, v0
	v_mad_u32_u24 v13, 0x84, v35, 0
	v_add_f16_e32 v3, v3, v19
	v_fmamk_f16 v19, v8, 0xbb47, v14
	v_add_f16_e32 v10, v10, v23
	v_fmac_f16_e32 v14, 0x3b47, v8
	v_fmamk_f16 v23, v8, 0x3beb, v0
	v_fmac_f16_e32 v0, 0xbbeb, v8
	v_add3_u32 v8, v13, v34, v30
	v_add_f16_e32 v1, v19, v1
	v_add_f16_e32 v7, v14, v7
	;; [unrolled: 1-line block ×4, first 2 shown]
	ds_store_b16 v8, v5
	ds_store_b16 v8, v11 offset:12
	ds_store_b16 v8, v12 offset:24
	;; [unrolled: 1-line block ×10, first 2 shown]
.LBB0_20:
	s_wait_alu 0xfffe
	s_or_b32 exec_lo, exec_lo, s1
	v_dual_mov_b32 v19, 0 :: v_dual_add_nc_u32 v4, 0x84, v18
	v_add_nc_u32_e32 v5, 0xc6, v18
	v_add_nc_u32_e32 v6, 0x108, v18
	;; [unrolled: 1-line block ×3, first 2 shown]
	s_delay_alu instid0(VALU_DEP_4)
	v_and_b32_e32 v0, 0xff, v4
	v_add_nc_u32_e32 v2, 0x18c, v18
	v_and_b32_e32 v1, 0xffff, v5
	v_add_nc_u32_e32 v8, 0x210, v18
	v_add_nc_u32_e32 v3, 0x1ce, v18
	v_mul_lo_u16 v0, 0xf9, v0
	v_and_b32_e32 v11, 0xffff, v6
	v_mul_u32_u24_e32 v1, 0xf83f, v1
	v_and_b32_e32 v12, 0xffff, v7
	v_and_b32_e32 v13, 0xffff, v2
	v_lshrrev_b16 v0, 14, v0
	v_and_b32_e32 v34, 0xffff, v8
	v_lshrrev_b32_e32 v1, 22, v1
	v_and_b32_e32 v14, 0xffff, v3
	v_mul_u32_u24_e32 v11, 0xf83f, v11
	v_mul_lo_u16 v9, 0x42, v0
	v_mul_u32_u24_e32 v12, 0xf83f, v12
	v_mul_lo_u16 v10, 0x42, v1
	v_lshlrev_b64_e32 v[0:1], 2, v[18:19]
	v_mul_u32_u24_e32 v13, 0xf83f, v13
	v_mul_u32_u24_e32 v34, 0xf83f, v34
	;; [unrolled: 1-line block ×3, first 2 shown]
	global_wb scope:SCOPE_SE
	s_wait_dscnt 0x0
	s_barrier_signal -1
	v_add_co_u32 v0, s0, s8, v0
	s_wait_alu 0xf1ff
	v_add_co_ci_u32_e64 v1, s0, s9, v1, s0
	s_barrier_wait -1
	global_inv scope:SCOPE_SE
	v_lshrrev_b32_e32 v35, 22, v11
	global_load_b32 v48, v[0:1], off offset:240
	v_lshrrev_b32_e32 v47, 22, v12
	v_lshrrev_b32_e32 v0, 22, v13
	;; [unrolled: 1-line block ×4, first 2 shown]
	v_mul_lo_u16 v14, 0x42, v35
	v_mul_lo_u16 v34, 0x42, v47
	;; [unrolled: 1-line block ×4, first 2 shown]
	v_sub_nc_u16 v9, v4, v9
	v_mul_lo_u16 v1, 0x42, v1
	v_sub_nc_u16 v10, v5, v10
	v_sub_nc_u16 v14, v6, v14
	;; [unrolled: 1-line block ×5, first 2 shown]
	v_and_b32_e32 v9, 0xff, v9
	v_sub_nc_u16 v1, v3, v1
	v_and_b32_e32 v10, 0xffff, v10
	v_and_b32_e32 v8, 0xffff, v14
	;; [unrolled: 1-line block ×5, first 2 shown]
	v_lshlrev_b32_e32 v18, 2, v9
	v_and_b32_e32 v34, 0xffff, v1
	v_lshlrev_b32_e32 v23, 2, v10
	v_lshlrev_b32_e32 v0, 2, v8
	;; [unrolled: 1-line block ×6, first 2 shown]
	s_clause 0x6
	global_load_b32 v49, v18, s[8:9] offset:240
	global_load_b32 v50, v23, s[8:9] offset:240
	;; [unrolled: 1-line block ×7, first 2 shown]
	v_mov_b32_e32 v23, v19
	v_lshrrev_b32_e32 v12, 23, v12
	ds_load_u16 v56, v29 offset:1320
	ds_load_u16 v57, v29 offset:1452
	;; [unrolled: 1-line block ×6, first 2 shown]
	ds_load_u16 v62, v28
	ds_load_u16 v63, v29 offset:132
	ds_load_u16 v64, v29 offset:264
	;; [unrolled: 1-line block ×9, first 2 shown]
	v_lshlrev_b32_e32 v18, 1, v31
	v_lshlrev_b64_e32 v[0:1], 2, v[22:23]
	v_mul_lo_u16 v12, 0x84, v12
	ds_load_u16 v22, v29 offset:2112
	ds_load_u16 v23, v29 offset:2244
	v_lshrrev_b32_e32 v11, 23, v11
	global_wb scope:SCOPE_SE
	s_wait_loadcnt_dscnt 0x0
	s_barrier_signal -1
	v_sub_nc_u16 v12, v7, v12
	s_barrier_wait -1
	global_inv scope:SCOPE_SE
	v_mul_lo_u16 v11, 0x84, v11
	v_lshlrev_b64_e32 v[2:3], 2, v[18:19]
	v_and_b32_e32 v31, 0xffff, v12
	v_lshlrev_b32_e32 v12, 1, v14
	v_lshlrev_b32_e32 v14, 1, v35
	v_sub_nc_u16 v11, v6, v11
	v_lshlrev_b32_e32 v9, 1, v9
	v_lshlrev_b32_e32 v10, 1, v10
	v_add_co_u32 v0, s0, s8, v0
	s_delay_alu instid0(VALU_DEP_4)
	v_and_b32_e32 v18, 0xffff, v11
	v_lshlrev_b32_e32 v8, 1, v8
	s_wait_alu 0xf1ff
	v_add_co_ci_u32_e64 v1, s0, s9, v1, s0
	v_lshlrev_b32_e32 v11, 1, v13
	v_lshlrev_b32_e32 v13, 1, v34
	v_add3_u32 v9, 0, v9, v30
	v_add_co_u32 v2, s0, s8, v2
	v_add3_u32 v10, 0, v10, v30
	s_wait_alu 0xf1ff
	v_add_co_ci_u32_e64 v3, s0, s9, v3, s0
	v_lshlrev_b32_e32 v34, 3, v18
	v_add3_u32 v8, 0, v8, v30
	v_add3_u32 v14, 0, v14, v30
	;; [unrolled: 1-line block ×5, first 2 shown]
	v_lshlrev_b32_e32 v18, 1, v18
	s_delay_alu instid0(VALU_DEP_1) | instskip(SKIP_1) | instid1(VALU_DEP_1)
	v_add3_u32 v18, 0, v18, v30
	v_lshrrev_b32_e32 v35, 16, v48
	v_mul_f16_e32 v72, v70, v35
	v_mul_f16_e32 v73, v53, v35
	;; [unrolled: 1-line block ×4, first 2 shown]
	s_delay_alu instid0(VALU_DEP_4) | instskip(NEXT) | instid1(VALU_DEP_4)
	v_fmac_f16_e32 v72, v53, v48
	v_fma_f16 v53, v70, v48, -v73
	s_delay_alu instid0(VALU_DEP_4) | instskip(NEXT) | instid1(VALU_DEP_4)
	v_fmac_f16_e32 v74, v44, v48
	v_fma_f16 v35, v56, v48, -v35
	s_delay_alu instid0(VALU_DEP_4) | instskip(NEXT) | instid1(VALU_DEP_4)
	v_sub_f16_e32 v44, v46, v72
	v_sub_f16_e32 v48, v62, v53
	s_delay_alu instid0(VALU_DEP_4) | instskip(NEXT) | instid1(VALU_DEP_4)
	v_sub_f16_e32 v53, v45, v74
	v_sub_f16_e32 v35, v63, v35
	s_delay_alu instid0(VALU_DEP_4) | instskip(NEXT) | instid1(VALU_DEP_4)
	v_fma_f16 v46, v46, 2.0, -v44
	v_fma_f16 v56, v62, 2.0, -v48
	s_delay_alu instid0(VALU_DEP_4) | instskip(NEXT) | instid1(VALU_DEP_4)
	v_fma_f16 v45, v45, 2.0, -v53
	v_fma_f16 v62, v63, 2.0, -v35
	ds_store_b16 v29, v46
	ds_store_b16 v29, v44 offset:132
	ds_store_b16 v29, v45 offset:264
	;; [unrolled: 1-line block ×3, first 2 shown]
	v_lshrrev_b32_e32 v63, 16, v49
	v_lshrrev_b32_e32 v70, 16, v50
	;; [unrolled: 1-line block ×7, first 2 shown]
	v_mul_f16_e32 v44, v57, v63
	v_mul_f16_e32 v46, v58, v70
	;; [unrolled: 1-line block ×14, first 2 shown]
	v_fmac_f16_e32 v44, v37, v49
	v_fmac_f16_e32 v46, v38, v50
	v_fma_f16 v37, v57, v49, -v45
	v_fmac_f16_e32 v63, v39, v51
	v_fmac_f16_e32 v72, v40, v52
	;; [unrolled: 1-line block ×4, first 2 shown]
	v_fma_f16 v38, v58, v50, -v53
	v_fma_f16 v39, v59, v51, -v70
	;; [unrolled: 1-line block ×4, first 2 shown]
	v_fmac_f16_e32 v78, v43, v55
	v_fma_f16 v22, v22, v55, -v75
	v_fma_f16 v23, v23, v47, -v76
	v_sub_f16_e32 v42, v36, v44
	v_sub_f16_e32 v43, v33, v46
	;; [unrolled: 1-line block ×14, first 2 shown]
	v_fma_f16 v36, v36, 2.0, -v42
	v_fma_f16 v33, v33, 2.0, -v43
	;; [unrolled: 1-line block ×14, first 2 shown]
	ds_store_b16 v9, v36 offset:528
	ds_store_b16 v9, v42 offset:660
	;; [unrolled: 1-line block ×14, first 2 shown]
	global_wb scope:SCOPE_SE
	s_wait_dscnt 0x0
	s_barrier_signal -1
	s_barrier_wait -1
	global_inv scope:SCOPE_SE
	ds_load_u16 v24, v29 offset:924
	ds_load_u16 v25, v29 offset:1716
	;; [unrolled: 1-line block ×4, first 2 shown]
	ds_load_u16 v33, v28
	ds_load_u16 v36, v29 offset:132
	ds_load_u16 v42, v29 offset:264
	;; [unrolled: 1-line block ×13, first 2 shown]
	global_wb scope:SCOPE_SE
	s_wait_dscnt 0x0
	s_barrier_signal -1
	s_barrier_wait -1
	global_inv scope:SCOPE_SE
	ds_store_b16 v29, v56
	ds_store_b16 v29, v48 offset:132
	ds_store_b16 v29, v62 offset:264
	;; [unrolled: 1-line block ×17, first 2 shown]
	global_wb scope:SCOPE_SE
	s_wait_dscnt 0x0
	s_barrier_signal -1
	s_barrier_wait -1
	global_inv scope:SCOPE_SE
	global_load_b64 v[8:9], v[0:1], off offset:504
	v_lshlrev_b32_e32 v14, 3, v31
	s_clause 0x2
	global_load_b64 v[10:11], v[2:3], off offset:504
	global_load_b64 v[12:13], v34, s[8:9] offset:504
	global_load_b64 v[14:15], v14, s[8:9] offset:504
	v_lshlrev_b32_e32 v22, 1, v31
	s_delay_alu instid0(VALU_DEP_1)
	v_add3_u32 v35, 0, v22, v30
	ds_load_u16 v22, v29 offset:792
	ds_load_u16 v23, v29 offset:924
	;; [unrolled: 1-line block ×6, first 2 shown]
	ds_load_u16 v38, v28
	ds_load_u16 v39, v29 offset:132
	ds_load_u16 v40, v29 offset:264
	;; [unrolled: 1-line block ×11, first 2 shown]
	global_wb scope:SCOPE_SE
	s_wait_loadcnt_dscnt 0x0
	s_barrier_signal -1
	s_barrier_wait -1
	global_inv scope:SCOPE_SE
	v_lshrrev_b32_e32 v57, 16, v8
	v_lshrrev_b32_e32 v62, 16, v9
	v_lshrrev_b32_e32 v64, 16, v10
	v_lshrrev_b32_e32 v65, 16, v11
	v_lshrrev_b32_e32 v66, 16, v12
	v_lshrrev_b32_e32 v67, 16, v13
	v_lshrrev_b32_e32 v68, 16, v14
	v_lshrrev_b32_e32 v69, 16, v15
	v_mul_f16_e32 v70, v22, v57
	v_mul_f16_e32 v72, v30, v62
	;; [unrolled: 1-line block ×16, first 2 shown]
	v_fmac_f16_e32 v70, v49, v8
	v_fmac_f16_e32 v72, v59, v9
	v_mul_f16_e32 v77, v25, v65
	v_mul_f16_e32 v66, v47, v66
	;; [unrolled: 1-line block ×3, first 2 shown]
	v_fmac_f16_e32 v74, v24, v10
	v_fmac_f16_e32 v76, v25, v11
	v_mul_f16_e32 v57, v45, v57
	v_mul_f16_e32 v62, v26, v62
	;; [unrolled: 1-line block ×5, first 2 shown]
	v_fmac_f16_e32 v78, v45, v8
	v_fmac_f16_e32 v79, v26, v9
	;; [unrolled: 1-line block ×8, first 2 shown]
	v_fma_f16 v22, v22, v8, -v71
	v_fma_f16 v30, v30, v9, -v73
	;; [unrolled: 1-line block ×4, first 2 shown]
	v_add_f16_e32 v26, v70, v72
	v_fma_f16 v24, v31, v11, -v77
	v_fma_f16 v12, v52, v12, -v66
	;; [unrolled: 1-line block ×3, first 2 shown]
	v_add_f16_e32 v45, v74, v76
	v_fma_f16 v8, v50, v8, -v57
	v_fma_f16 v9, v34, v9, -v62
	;; [unrolled: 1-line block ×5, first 2 shown]
	v_add_f16_e32 v51, v78, v79
	v_add_f16_e32 v57, v80, v81
	;; [unrolled: 1-line block ×5, first 2 shown]
	v_sub_f16_e32 v31, v22, v30
	v_add_f16_e32 v32, v38, v22
	v_add_f16_e32 v22, v22, v30
	;; [unrolled: 1-line block ×5, first 2 shown]
	v_fmac_f16_e32 v33, -0.5, v26
	v_sub_f16_e32 v46, v23, v24
	v_sub_f16_e32 v64, v12, v13
	v_add_f16_e32 v65, v48, v12
	v_add_f16_e32 v12, v12, v13
	v_fmac_f16_e32 v36, -0.5, v45
	v_sub_f16_e32 v34, v70, v72
	v_add_f16_e32 v23, v23, v24
	v_add_f16_e32 v50, v42, v78
	v_sub_f16_e32 v52, v8, v9
	v_add_f16_e32 v54, v40, v8
	v_add_f16_e32 v8, v8, v9
	v_add_f16_e32 v56, v43, v80
	v_sub_f16_e32 v59, v10, v11
	v_add_f16_e32 v10, v10, v11
	;; [unrolled: 4-line block ×3, first 2 shown]
	v_add_f16_e32 v14, v14, v15
	v_fmac_f16_e32 v42, -0.5, v51
	v_fmac_f16_e32 v43, -0.5, v57
	;; [unrolled: 1-line block ×4, first 2 shown]
	v_add_f16_e32 v25, v25, v72
	v_fmac_f16_e32 v38, -0.5, v22
	v_add_f16_e32 v22, v37, v76
	v_add_f16_e32 v37, v47, v24
	;; [unrolled: 1-line block ×3, first 2 shown]
	v_fmamk_f16 v11, v31, 0xbaee, v33
	v_fmac_f16_e32 v48, -0.5, v12
	v_fmamk_f16 v12, v46, 0xbaee, v36
	v_fmac_f16_e32 v39, -0.5, v23
	v_add_f16_e32 v23, v50, v79
	v_add_f16_e32 v45, v54, v9
	v_fmac_f16_e32 v40, -0.5, v8
	v_add_f16_e32 v8, v56, v81
	v_fmac_f16_e32 v41, -0.5, v10
	v_add_f16_e32 v9, v62, v83
	v_add_f16_e32 v50, v65, v13
	;; [unrolled: 1-line block ×4, first 2 shown]
	v_fmac_f16_e32 v53, -0.5, v14
	v_fmac_f16_e32 v33, 0x3aee, v31
	v_fmamk_f16 v13, v52, 0xbaee, v42
	v_fmamk_f16 v14, v59, 0xbaee, v43
	;; [unrolled: 1-line block ×4, first 2 shown]
	v_add_f16_e32 v72, v32, v30
	v_fmamk_f16 v54, v34, 0x3aee, v38
	v_fmac_f16_e32 v38, 0xbaee, v34
	v_fmac_f16_e32 v36, 0x3aee, v46
	;; [unrolled: 1-line block ×6, first 2 shown]
	ds_store_b16 v29, v25
	ds_store_b16 v29, v11 offset:264
	ds_store_b16 v29, v22 offset:132
	;; [unrolled: 1-line block ×17, first 2 shown]
	global_wb scope:SCOPE_SE
	s_wait_dscnt 0x0
	s_barrier_signal -1
	s_barrier_wait -1
	global_inv scope:SCOPE_SE
	ds_load_u16 v23, v29 offset:924
	ds_load_u16 v24, v29 offset:1716
	ds_load_u16 v11, v29 offset:1848
	ds_load_u16 v15, v29 offset:1980
	ds_load_u16 v10, v28
	ds_load_u16 v12, v29 offset:132
	ds_load_u16 v8, v29 offset:264
	;; [unrolled: 1-line block ×13, first 2 shown]
	v_sub_f16_e32 v49, v74, v76
	v_sub_f16_e32 v55, v78, v79
	;; [unrolled: 1-line block ×5, first 2 shown]
	v_fmamk_f16 v46, v49, 0x3aee, v39
	v_fmac_f16_e32 v39, 0xbaee, v49
	v_fmamk_f16 v49, v55, 0x3aee, v40
	v_fmac_f16_e32 v40, 0xbaee, v55
	;; [unrolled: 2-line block ×5, first 2 shown]
	global_wb scope:SCOPE_SE
	s_wait_dscnt 0x0
	s_barrier_signal -1
	s_barrier_wait -1
	global_inv scope:SCOPE_SE
	ds_store_b16 v29, v72
	ds_store_b16 v29, v54 offset:264
	ds_store_b16 v29, v37 offset:132
	;; [unrolled: 1-line block ×17, first 2 shown]
	global_wb scope:SCOPE_SE
	s_wait_dscnt 0x0
	s_barrier_signal -1
	s_barrier_wait -1
	global_inv scope:SCOPE_SE
	s_and_saveexec_b32 s0, vcc_lo
	s_cbranch_execz .LBB0_22
; %bb.21:
	v_lshlrev_b32_e32 v18, 1, v7
	v_mul_hi_u32 v42, 0xa57eb503, v27
	v_add_nc_u32_e32 v43, 0x42, v27
	v_mul_lo_u32 v39, s2, v21
	v_add_nc_u32_e32 v46, 0x108, v27
	v_lshlrev_b64_e32 v[35:36], 2, v[18:19]
	v_dual_mov_b32 v41, v19 :: v_dual_lshlrev_b32 v18, 1, v6
	v_add_nc_u32_e32 v44, 0x84, v27
	v_lshrrev_b32_e32 v51, 8, v42
	v_dual_mov_b32 v40, v19 :: v_dual_add_nc_u32 v45, 0xc6, v27
	v_add_co_u32 v6, vcc_lo, s8, v35
	s_wait_alu 0xfffd
	v_add_co_ci_u32_e32 v7, vcc_lo, s9, v36, vcc_lo
	v_lshlrev_b64_e32 v[35:36], 2, v[18:19]
	v_lshlrev_b32_e32 v18, 1, v5
	v_mul_u32_u24_e32 v51, 0x18c, v51
	global_load_b64 v[6:7], v[6:7], off offset:1560
	v_dual_mov_b32 v42, v19 :: v_dual_add_nc_u32 v47, 0x14a, v27
	v_lshlrev_b64_e32 v[37:38], 2, v[18:19]
	v_lshlrev_b32_e32 v18, 1, v4
	v_add_co_u32 v35, vcc_lo, s8, v35
	s_wait_alu 0xfffd
	v_add_co_ci_u32_e32 v36, vcc_lo, s9, v36, vcc_lo
	s_delay_alu instid0(VALU_DEP_3)
	v_lshlrev_b64_e32 v[4:5], 2, v[18:19]
	v_add_co_u32 v37, vcc_lo, s8, v37
	global_load_b64 v[35:36], v[35:36], off offset:1560
	s_wait_alu 0xfffd
	v_add_co_ci_u32_e32 v38, vcc_lo, s9, v38, vcc_lo
	v_add_co_u32 v4, vcc_lo, s8, v4
	s_clause 0x2
	global_load_b64 v[2:3], v[2:3], off offset:1560
	global_load_b64 v[0:1], v[0:1], off offset:1560
	;; [unrolled: 1-line block ×3, first 2 shown]
	s_wait_alu 0xfffd
	v_add_co_ci_u32_e32 v5, vcc_lo, s9, v5, vcc_lo
	v_mul_lo_u32 v18, s3, v20
	v_mad_co_u64_u32 v[20:21], null, s2, v20, 0
	global_load_b64 v[4:5], v[4:5], off offset:1560
	ds_load_u16 v63, v29 offset:2244
	ds_load_u16 v64, v29 offset:2112
	ds_load_u16 v65, v29 offset:1980
	ds_load_u16 v66, v29 offset:1848
	ds_load_u16 v67, v29 offset:1716
	ds_load_u16 v68, v29 offset:1584
	ds_load_u16 v69, v29 offset:1452
	ds_load_u16 v70, v29 offset:1320
	ds_load_u16 v71, v29 offset:1188
	ds_load_u16 v72, v29 offset:1056
	ds_load_u16 v73, v29 offset:924
	ds_load_u16 v74, v29 offset:792
	ds_load_u16 v75, v29 offset:660
	ds_load_u16 v76, v29 offset:528
	ds_load_u16 v77, v29 offset:396
	ds_load_u16 v78, v29 offset:264
	ds_load_u16 v79, v29 offset:132
	ds_load_u16 v80, v28
	v_mov_b32_e32 v28, v19
	v_mul_hi_u32 v48, 0xa57eb503, v43
	v_mul_hi_u32 v49, 0xa57eb503, v44
	;; [unrolled: 1-line block ×3, first 2 shown]
	v_add3_u32 v21, v21, v39, v18
	v_mul_hi_u32 v18, 0xa57eb503, v46
	v_mul_hi_u32 v39, 0xa57eb503, v47
	v_lshlrev_b64_e32 v[16:17], 2, v[16:17]
	v_mov_b32_e32 v29, v19
	v_lshrrev_b32_e32 v48, 8, v48
	v_lshlrev_b64_e32 v[20:21], 2, v[20:21]
	v_lshrrev_b32_e32 v49, 8, v49
	v_lshrrev_b32_e32 v52, 8, v50
	;; [unrolled: 1-line block ×3, first 2 shown]
	v_sub_nc_u32_e32 v18, v27, v51
	v_mul_u32_u24_e32 v27, 0x18c, v48
	v_add_co_u32 v20, vcc_lo, s6, v20
	v_lshrrev_b32_e32 v61, 8, v39
	s_delay_alu instid0(VALU_DEP_4) | instskip(NEXT) | instid1(VALU_DEP_4)
	v_lshlrev_b32_e32 v54, 2, v18
	v_sub_nc_u32_e32 v18, v43, v27
	v_mul_u32_u24_e32 v39, 0x18c, v49
	s_wait_alu 0xfffd
	v_add_co_ci_u32_e32 v21, vcc_lo, s7, v21, vcc_lo
	v_add_co_u32 v81, vcc_lo, v20, v16
	v_mad_u32_u24 v18, 0x4a4, v48, v18
	v_mul_u32_u24_e32 v50, 0x18c, v52
	v_mul_u32_u24_e32 v51, 0x18c, v57
	v_sub_nc_u32_e32 v39, v44, v39
	s_wait_alu 0xfffd
	v_add_co_ci_u32_e32 v82, vcc_lo, v21, v17, vcc_lo
	v_lshlrev_b64_e32 v[16:17], 2, v[18:19]
	v_add_nc_u32_e32 v27, 0x18c, v18
	v_add_nc_u32_e32 v18, 0x318, v18
	v_mul_u32_u24_e32 v53, 0x18c, v61
	v_sub_nc_u32_e32 v55, v45, v50
	v_sub_nc_u32_e32 v58, v46, v51
	v_add_co_u32 v20, vcc_lo, v81, v54
	v_lshlrev_b64_e32 v[45:46], 2, v[18:19]
	v_mad_u32_u24 v18, 0x4a4, v49, v39
	v_lshlrev_b64_e32 v[43:44], 2, v[27:28]
	v_sub_nc_u32_e32 v62, v47, v53
	s_wait_alu 0xfffd
	v_add_co_ci_u32_e32 v21, vcc_lo, 0, v82, vcc_lo
	v_lshlrev_b64_e32 v[47:48], 2, v[18:19]
	v_add_nc_u32_e32 v28, 0x18c, v18
	v_add_nc_u32_e32 v18, 0x318, v18
	v_add_co_u32 v16, vcc_lo, v81, v16
	s_wait_alu 0xfffd
	v_add_co_ci_u32_e32 v17, vcc_lo, v82, v17, vcc_lo
	v_add_co_u32 v43, vcc_lo, v81, v43
	v_lshlrev_b64_e32 v[49:50], 2, v[18:19]
	v_mad_u32_u24 v18, 0x4a4, v52, v55
	s_wait_alu 0xfffd
	v_add_co_ci_u32_e32 v44, vcc_lo, v82, v44, vcc_lo
	v_add_co_u32 v45, vcc_lo, v81, v45
	v_lshlrev_b64_e32 v[27:28], 2, v[28:29]
	s_wait_alu 0xfffd
	v_add_co_ci_u32_e32 v46, vcc_lo, v82, v46, vcc_lo
	v_lshlrev_b64_e32 v[51:52], 2, v[18:19]
	v_add_nc_u32_e32 v39, 0x18c, v18
	v_add_nc_u32_e32 v18, 0x318, v18
	v_add_co_u32 v47, vcc_lo, v81, v47
	s_wait_alu 0xfffd
	v_add_co_ci_u32_e32 v48, vcc_lo, v82, v48, vcc_lo
	v_add_co_u32 v27, vcc_lo, v81, v27
	v_lshlrev_b64_e32 v[55:56], 2, v[18:19]
	v_mad_u32_u24 v18, 0x4a4, v57, v58
	s_wait_alu 0xfffd
	v_add_co_ci_u32_e32 v28, vcc_lo, v82, v28, vcc_lo
	v_add_co_u32 v49, vcc_lo, v81, v49
	v_lshlrev_b64_e32 v[53:54], 2, v[39:40]
	s_wait_alu 0xfffd
	v_add_co_ci_u32_e32 v50, vcc_lo, v82, v50, vcc_lo
	v_add_co_u32 v51, vcc_lo, v81, v51
	v_lshlrev_b64_e32 v[57:58], 2, v[18:19]
	v_add_nc_u32_e32 v40, 0x18c, v18
	v_add_nc_u32_e32 v18, 0x318, v18
	s_wait_alu 0xfffd
	v_add_co_ci_u32_e32 v52, vcc_lo, v82, v52, vcc_lo
	v_add_co_u32 v53, vcc_lo, v81, v53
	s_wait_alu 0xfffd
	v_add_co_ci_u32_e32 v54, vcc_lo, v82, v54, vcc_lo
	v_lshlrev_b64_e32 v[59:60], 2, v[18:19]
	v_mad_u32_u24 v18, 0x4a4, v61, v62
	v_add_co_u32 v55, vcc_lo, v81, v55
	v_lshlrev_b64_e32 v[39:40], 2, v[40:41]
	s_wait_alu 0xfffd
	v_add_co_ci_u32_e32 v56, vcc_lo, v82, v56, vcc_lo
	v_add_co_u32 v57, vcc_lo, v81, v57
	v_add_nc_u32_e32 v41, 0x18c, v18
	s_wait_alu 0xfffd
	v_add_co_ci_u32_e32 v58, vcc_lo, v82, v58, vcc_lo
	v_lshlrev_b64_e32 v[61:62], 2, v[18:19]
	v_add_co_u32 v39, vcc_lo, v81, v39
	v_add_nc_u32_e32 v18, 0x318, v18
	s_wait_alu 0xfffd
	v_add_co_ci_u32_e32 v40, vcc_lo, v82, v40, vcc_lo
	v_add_co_u32 v59, vcc_lo, v81, v59
	v_lshlrev_b64_e32 v[41:42], 2, v[41:42]
	s_wait_alu 0xfffd
	v_add_co_ci_u32_e32 v60, vcc_lo, v82, v60, vcc_lo
	v_lshlrev_b64_e32 v[18:19], 2, v[18:19]
	v_add_co_u32 v61, vcc_lo, v81, v61
	s_wait_alu 0xfffd
	v_add_co_ci_u32_e32 v62, vcc_lo, v82, v62, vcc_lo
	v_add_co_u32 v41, vcc_lo, v81, v41
	s_wait_alu 0xfffd
	v_add_co_ci_u32_e32 v42, vcc_lo, v82, v42, vcc_lo
	;; [unrolled: 3-line block ×3, first 2 shown]
	s_wait_loadcnt 0x5
	v_lshrrev_b32_e32 v29, 16, v6
	v_lshrrev_b32_e32 v83, 16, v7
	s_delay_alu instid0(VALU_DEP_2) | instskip(NEXT) | instid1(VALU_DEP_2)
	v_mul_f16_e32 v81, v33, v29
	v_mul_f16_e32 v82, v34, v83
	s_wait_dscnt 0xb
	v_mul_f16_e32 v29, v69, v29
	v_mul_f16_e32 v83, v63, v83
	v_fma_f16 v69, v69, v6, -v81
	v_fma_f16 v63, v63, v7, -v82
	s_wait_loadcnt 0x4
	v_lshrrev_b32_e32 v84, 16, v35
	v_lshrrev_b32_e32 v85, 16, v36
	v_fmac_f16_e32 v29, v33, v6
	v_fmac_f16_e32 v83, v34, v7
	s_wait_loadcnt 0x3
	v_lshrrev_b32_e32 v86, 16, v2
	v_lshrrev_b32_e32 v87, 16, v3
	s_wait_loadcnt 0x2
	v_lshrrev_b32_e32 v88, 16, v0
	v_lshrrev_b32_e32 v89, 16, v1
	v_mul_f16_e32 v6, v31, v84
	v_mul_f16_e32 v7, v32, v85
	s_wait_dscnt 0xa
	v_mul_f16_e32 v33, v70, v84
	v_mul_f16_e32 v34, v64, v85
	s_wait_loadcnt 0x1
	v_lshrrev_b32_e32 v81, 16, v37
	v_lshrrev_b32_e32 v82, 16, v38
	v_mul_f16_e32 v84, v23, v86
	v_mul_f16_e32 v85, v24, v87
	s_wait_dscnt 0x7
	v_mul_f16_e32 v86, v73, v86
	v_mul_f16_e32 v87, v67, v87
	;; [unrolled: 1-line block ×4, first 2 shown]
	s_wait_dscnt 0x6
	v_mul_f16_e32 v88, v74, v88
	v_mul_f16_e32 v89, v68, v89
	v_sub_f16_e32 v93, v29, v83
	v_add_f16_e32 v94, v29, v83
	v_add_f16_e32 v29, v25, v29
	v_fma_f16 v6, v70, v35, -v6
	v_fma_f16 v7, v64, v36, -v7
	v_fmac_f16_e32 v33, v31, v35
	v_fmac_f16_e32 v34, v32, v36
	v_mul_f16_e32 v31, v22, v81
	v_mul_f16_e32 v32, v15, v82
	;; [unrolled: 1-line block ×4, first 2 shown]
	s_wait_loadcnt 0x0
	v_lshrrev_b32_e32 v64, 16, v4
	v_lshrrev_b32_e32 v70, 16, v5
	v_add_f16_e32 v92, v69, v63
	v_sub_f16_e32 v95, v69, v63
	s_wait_dscnt 0x5
	v_add_f16_e32 v69, v75, v69
	v_fma_f16 v73, v73, v2, -v84
	v_fma_f16 v67, v67, v3, -v85
	v_fmac_f16_e32 v86, v23, v2
	v_fmac_f16_e32 v87, v24, v3
	v_fma_f16 v2, v74, v0, -v90
	v_fma_f16 v3, v68, v1, -v91
	v_fmac_f16_e32 v88, v26, v0
	v_fmac_f16_e32 v89, v30, v1
	v_fma_f16 v1, -0.5, v94, v25
	v_add_f16_e32 v24, v29, v83
	v_add_f16_e32 v25, v6, v7
	v_sub_f16_e32 v26, v33, v34
	v_add_f16_e32 v29, v33, v34
	v_sub_f16_e32 v30, v6, v7
	s_wait_dscnt 0x4
	v_add_f16_e32 v6, v76, v6
	v_add_f16_e32 v33, v14, v33
	v_fma_f16 v31, v71, v37, -v31
	v_fma_f16 v32, v65, v38, -v32
	v_fmac_f16_e32 v35, v22, v37
	v_fmac_f16_e32 v36, v15, v38
	v_mul_f16_e32 v15, v13, v64
	v_mul_f16_e32 v22, v11, v70
	;; [unrolled: 1-line block ×4, first 2 shown]
	v_fma_f16 v0, -0.5, v92, v75
	v_add_f16_e32 v23, v69, v63
	v_add_f16_e32 v63, v73, v67
	;; [unrolled: 1-line block ×3, first 2 shown]
	s_wait_dscnt 0x1
	v_add_f16_e32 v69, v79, v73
	v_add_f16_e32 v70, v12, v86
	;; [unrolled: 1-line block ×4, first 2 shown]
	v_sub_f16_e32 v75, v2, v3
	s_wait_dscnt 0x0
	v_add_f16_e32 v2, v80, v2
	v_add_f16_e32 v81, v10, v88
	v_fma_f16 v25, -0.5, v25, v76
	v_fma_f16 v14, -0.5, v29, v14
	v_add_f16_e32 v6, v6, v7
	v_add_f16_e32 v7, v33, v34
	;; [unrolled: 1-line block ×4, first 2 shown]
	v_sub_f16_e32 v76, v31, v32
	v_add_f16_e32 v31, v77, v31
	v_fma_f16 v15, v72, v4, -v15
	v_fma_f16 v22, v66, v5, -v22
	v_fmac_f16_e32 v37, v13, v4
	v_fmac_f16_e32 v38, v11, v5
	v_sub_f16_e32 v33, v35, v36
	v_add_f16_e32 v35, v9, v35
	v_sub_f16_e32 v64, v86, v87
	v_sub_f16_e32 v68, v73, v67
	;; [unrolled: 1-line block ×3, first 2 shown]
	v_fma_f16 v4, -0.5, v63, v79
	v_fma_f16 v5, -0.5, v65, v12
	v_add_f16_e32 v11, v69, v67
	v_add_f16_e32 v12, v70, v87
	v_fma_f16 v13, -0.5, v71, v80
	v_fma_f16 v10, -0.5, v74, v10
	v_add_f16_e32 v2, v2, v3
	v_add_f16_e32 v3, v81, v89
	v_pack_b32_f16 v23, v24, v23
	v_fmamk_f16 v24, v26, 0xbaee, v25
	v_fmac_f16_e32 v25, 0x3aee, v26
	v_fma_f16 v26, -0.5, v29, v77
	v_fma_f16 v9, -0.5, v34, v9
	v_add_f16_e32 v29, v31, v32
	v_add_f16_e32 v31, v15, v22
	;; [unrolled: 1-line block ×3, first 2 shown]
	v_fmamk_f16 v63, v30, 0x3aee, v14
	v_fmac_f16_e32 v14, 0xbaee, v30
	v_add_f16_e32 v30, v35, v36
	v_sub_f16_e32 v35, v15, v22
	v_add_f16_e32 v15, v78, v15
	v_add_f16_e32 v36, v8, v37
	v_sub_f16_e32 v32, v37, v38
	v_fmamk_f16 v37, v64, 0xbaee, v4
	v_fmac_f16_e32 v4, 0x3aee, v64
	v_fmamk_f16 v64, v73, 0xbaee, v13
	v_fmamk_f16 v66, v75, 0x3aee, v10
	v_fmac_f16_e32 v13, 0x3aee, v73
	v_fmac_f16_e32 v10, 0xbaee, v75
	v_pack_b32_f16 v2, v3, v2
	v_pack_b32_f16 v3, v12, v11
	v_fma_f16 v12, -0.5, v31, v78
	v_fma_f16 v8, -0.5, v34, v8
	v_fmamk_f16 v65, v68, 0x3aee, v5
	v_fmac_f16_e32 v5, 0xbaee, v68
	v_add_f16_e32 v15, v15, v22
	v_add_f16_e32 v22, v36, v38
	v_pack_b32_f16 v10, v10, v13
	v_pack_b32_f16 v29, v30, v29
	;; [unrolled: 1-line block ×3, first 2 shown]
	v_fmamk_f16 v25, v32, 0xbaee, v12
	v_fmamk_f16 v30, v35, 0x3aee, v8
	v_fmac_f16_e32 v12, 0x3aee, v32
	v_fmac_f16_e32 v8, 0xbaee, v35
	v_pack_b32_f16 v13, v66, v64
	v_pack_b32_f16 v6, v7, v6
	v_fmamk_f16 v7, v33, 0xbaee, v26
	v_fmamk_f16 v11, v76, 0x3aee, v9
	v_fmac_f16_e32 v26, 0x3aee, v33
	v_fmac_f16_e32 v9, 0xbaee, v76
	v_pack_b32_f16 v4, v5, v4
	v_fmamk_f16 v82, v93, 0xbaee, v0
	v_fmamk_f16 v83, v95, 0x3aee, v1
	v_fmac_f16_e32 v0, 0x3aee, v93
	v_fmac_f16_e32 v1, 0xbaee, v95
	v_pack_b32_f16 v5, v65, v37
	s_clause 0x5
	global_store_b32 v[20:21], v2, off
	global_store_b32 v[20:21], v10, off offset:1584
	global_store_b32 v[20:21], v13, off offset:3168
	global_store_b32 v[16:17], v3, off
	global_store_b32 v[43:44], v4, off
	global_store_b32 v[45:46], v5, off
	v_pack_b32_f16 v2, v22, v15
	v_pack_b32_f16 v3, v8, v12
	;; [unrolled: 1-line block ×8, first 2 shown]
	s_clause 0xb
	global_store_b32 v[47:48], v2, off
	global_store_b32 v[27:28], v3, off
	;; [unrolled: 1-line block ×12, first 2 shown]
.LBB0_22:
	s_nop 0
	s_sendmsg sendmsg(MSG_DEALLOC_VGPRS)
	s_endpgm
	.section	.rodata,"a",@progbits
	.p2align	6, 0x0
	.amdhsa_kernel fft_rtc_back_len1188_factors_6_11_2_3_3_wgs_198_tpt_66_halfLds_half_op_CI_CI_unitstride_sbrr_dirReg
		.amdhsa_group_segment_fixed_size 0
		.amdhsa_private_segment_fixed_size 0
		.amdhsa_kernarg_size 104
		.amdhsa_user_sgpr_count 2
		.amdhsa_user_sgpr_dispatch_ptr 0
		.amdhsa_user_sgpr_queue_ptr 0
		.amdhsa_user_sgpr_kernarg_segment_ptr 1
		.amdhsa_user_sgpr_dispatch_id 0
		.amdhsa_user_sgpr_private_segment_size 0
		.amdhsa_wavefront_size32 1
		.amdhsa_uses_dynamic_stack 0
		.amdhsa_enable_private_segment 0
		.amdhsa_system_sgpr_workgroup_id_x 1
		.amdhsa_system_sgpr_workgroup_id_y 0
		.amdhsa_system_sgpr_workgroup_id_z 0
		.amdhsa_system_sgpr_workgroup_info 0
		.amdhsa_system_vgpr_workitem_id 0
		.amdhsa_next_free_vgpr 110
		.amdhsa_next_free_sgpr 39
		.amdhsa_reserve_vcc 1
		.amdhsa_float_round_mode_32 0
		.amdhsa_float_round_mode_16_64 0
		.amdhsa_float_denorm_mode_32 3
		.amdhsa_float_denorm_mode_16_64 3
		.amdhsa_fp16_overflow 0
		.amdhsa_workgroup_processor_mode 1
		.amdhsa_memory_ordered 1
		.amdhsa_forward_progress 0
		.amdhsa_round_robin_scheduling 0
		.amdhsa_exception_fp_ieee_invalid_op 0
		.amdhsa_exception_fp_denorm_src 0
		.amdhsa_exception_fp_ieee_div_zero 0
		.amdhsa_exception_fp_ieee_overflow 0
		.amdhsa_exception_fp_ieee_underflow 0
		.amdhsa_exception_fp_ieee_inexact 0
		.amdhsa_exception_int_div_zero 0
	.end_amdhsa_kernel
	.text
.Lfunc_end0:
	.size	fft_rtc_back_len1188_factors_6_11_2_3_3_wgs_198_tpt_66_halfLds_half_op_CI_CI_unitstride_sbrr_dirReg, .Lfunc_end0-fft_rtc_back_len1188_factors_6_11_2_3_3_wgs_198_tpt_66_halfLds_half_op_CI_CI_unitstride_sbrr_dirReg
                                        ; -- End function
	.section	.AMDGPU.csdata,"",@progbits
; Kernel info:
; codeLenInByte = 14380
; NumSgprs: 41
; NumVgprs: 110
; ScratchSize: 0
; MemoryBound: 0
; FloatMode: 240
; IeeeMode: 1
; LDSByteSize: 0 bytes/workgroup (compile time only)
; SGPRBlocks: 5
; VGPRBlocks: 13
; NumSGPRsForWavesPerEU: 41
; NumVGPRsForWavesPerEU: 110
; Occupancy: 12
; WaveLimiterHint : 1
; COMPUTE_PGM_RSRC2:SCRATCH_EN: 0
; COMPUTE_PGM_RSRC2:USER_SGPR: 2
; COMPUTE_PGM_RSRC2:TRAP_HANDLER: 0
; COMPUTE_PGM_RSRC2:TGID_X_EN: 1
; COMPUTE_PGM_RSRC2:TGID_Y_EN: 0
; COMPUTE_PGM_RSRC2:TGID_Z_EN: 0
; COMPUTE_PGM_RSRC2:TIDIG_COMP_CNT: 0
	.text
	.p2alignl 7, 3214868480
	.fill 96, 4, 3214868480
	.type	__hip_cuid_ec8580220356ed1f,@object ; @__hip_cuid_ec8580220356ed1f
	.section	.bss,"aw",@nobits
	.globl	__hip_cuid_ec8580220356ed1f
__hip_cuid_ec8580220356ed1f:
	.byte	0                               ; 0x0
	.size	__hip_cuid_ec8580220356ed1f, 1

	.ident	"AMD clang version 19.0.0git (https://github.com/RadeonOpenCompute/llvm-project roc-6.4.0 25133 c7fe45cf4b819c5991fe208aaa96edf142730f1d)"
	.section	".note.GNU-stack","",@progbits
	.addrsig
	.addrsig_sym __hip_cuid_ec8580220356ed1f
	.amdgpu_metadata
---
amdhsa.kernels:
  - .args:
      - .actual_access:  read_only
        .address_space:  global
        .offset:         0
        .size:           8
        .value_kind:     global_buffer
      - .offset:         8
        .size:           8
        .value_kind:     by_value
      - .actual_access:  read_only
        .address_space:  global
        .offset:         16
        .size:           8
        .value_kind:     global_buffer
      - .actual_access:  read_only
        .address_space:  global
        .offset:         24
        .size:           8
        .value_kind:     global_buffer
      - .actual_access:  read_only
        .address_space:  global
        .offset:         32
        .size:           8
        .value_kind:     global_buffer
      - .offset:         40
        .size:           8
        .value_kind:     by_value
      - .actual_access:  read_only
        .address_space:  global
        .offset:         48
        .size:           8
        .value_kind:     global_buffer
      - .actual_access:  read_only
        .address_space:  global
        .offset:         56
        .size:           8
        .value_kind:     global_buffer
      - .offset:         64
        .size:           4
        .value_kind:     by_value
      - .actual_access:  read_only
        .address_space:  global
        .offset:         72
        .size:           8
        .value_kind:     global_buffer
      - .actual_access:  read_only
        .address_space:  global
        .offset:         80
        .size:           8
        .value_kind:     global_buffer
      - .actual_access:  read_only
        .address_space:  global
        .offset:         88
        .size:           8
        .value_kind:     global_buffer
      - .actual_access:  write_only
        .address_space:  global
        .offset:         96
        .size:           8
        .value_kind:     global_buffer
    .group_segment_fixed_size: 0
    .kernarg_segment_align: 8
    .kernarg_segment_size: 104
    .language:       OpenCL C
    .language_version:
      - 2
      - 0
    .max_flat_workgroup_size: 198
    .name:           fft_rtc_back_len1188_factors_6_11_2_3_3_wgs_198_tpt_66_halfLds_half_op_CI_CI_unitstride_sbrr_dirReg
    .private_segment_fixed_size: 0
    .sgpr_count:     41
    .sgpr_spill_count: 0
    .symbol:         fft_rtc_back_len1188_factors_6_11_2_3_3_wgs_198_tpt_66_halfLds_half_op_CI_CI_unitstride_sbrr_dirReg.kd
    .uniform_work_group_size: 1
    .uses_dynamic_stack: false
    .vgpr_count:     110
    .vgpr_spill_count: 0
    .wavefront_size: 32
    .workgroup_processor_mode: 1
amdhsa.target:   amdgcn-amd-amdhsa--gfx1201
amdhsa.version:
  - 1
  - 2
...

	.end_amdgpu_metadata
